;; amdgpu-corpus repo=ROCm/aiter kind=harvested arch=n/a opt=n/a

/root/src/amdgpu-assembly/repos/ROCm__aiter/hsa/gfx942/fmoe/silu/fmoe_bf16_pertokenFp8_g1u1_vs_tkw1_silu_1tg_32x256.co:	file format elf64-amdgpu

Disassembly of section .text:

0000000000002e00 <_ZN5aiter50fmoe_bf16_pertokenFp8_g1u1_vs_tkw1_silu_1tg_32x256E>:
	s_and_b32 s1, s1, 0xffff                                   // 000000002E00: 8601FF01 0000FFFF
	s_load_dwordx2 s[8:9], s[0:1], 0x0                         // 000000002E08: C0060200 00000000
	s_load_dwordx2 s[20:21], s[0:1], 0x10                      // 000000002E10: C0060500 00000010
	s_load_dwordx2 s[24:25], s[0:1], 0x20                      // 000000002E18: C0060600 00000020
	s_load_dwordx2 s[50:51], s[0:1], 0x30                      // 000000002E20: C0060C80 00000030
	s_load_dwordx2 s[12:13], s[0:1], 0x40                      // 000000002E28: C0060300 00000040
	s_load_dwordx2 s[28:29], s[0:1], 0x50                      // 000000002E30: C0060700 00000050
	s_load_dwordx2 s[32:33], s[0:1], 0x60                      // 000000002E38: C0060800 00000060
	s_load_dwordx2 s[16:17], s[0:1], 0x70                      // 000000002E40: C0060400 00000070
	s_load_dwordx2 s[36:37], s[0:1], 0x80                      // 000000002E48: C0060900 00000080
	s_load_dwordx2 s[44:45], s[0:1], 0x90                      // 000000002E50: C0060B00 00000090
	s_load_dwordx2 s[40:41], s[0:1], 0xa0                      // 000000002E58: C0060A00 000000A0
	s_load_dwordx2 s[46:47], s[0:1], 0xb0                      // 000000002E60: C0060B80 000000B0
	s_load_dword s64, s[0:1], 0xc0                             // 000000002E68: C0021000 000000C0
	s_load_dword s65, s[0:1], 0xd0                             // 000000002E70: C0021040 000000D0
	s_load_dword s66, s[0:1], 0xe0                             // 000000002E78: C0021080 000000E0
	s_load_dword s67, s[0:1], 0xf0                             // 000000002E80: C00210C0 000000F0
	s_load_dword s68, s[0:1], 0x100                            // 000000002E88: C0021100 00000100
	s_load_dword s69, s[0:1], 0x110                            // 000000002E90: C0021140 00000110
	s_load_dword s70, s[0:1], 0x120                            // 000000002E98: C0021180 00000120
	s_load_dword s71, s[0:1], 0x130                            // 000000002EA0: C00211C0 00000130
	s_load_dword s72, s[0:1], 0x140                            // 000000002EA8: C0021200 00000140
	s_load_dword s73, s[0:1], 0x150                            // 000000002EB0: C0021240 00000150
	s_load_dword s74, s[0:1], 0x160                            // 000000002EB8: C0021280 00000160
	s_load_dword s75, s[0:1], 0x170                            // 000000002EC0: C00212C0 00000170
	s_load_dword s76, s[0:1], 0x180                            // 000000002EC8: C0021300 00000180
	v_lshrrev_b32_e32 v1, 10, v0                               // 000000002ED0: 2002008A
	v_lshrrev_b32_e32 v2, 10, v1                               // 000000002ED4: 2004028A
	v_and_b32_e32 v2, 0x3ff, v2                                // 000000002ED8: 260404FF 000003FF
	v_and_b32_e32 v1, 0x3ff, v1                                // 000000002EE0: 260202FF 000003FF
	v_and_b32_e32 v0, 0x3ff, v0                                // 000000002EE8: 260000FF 000003FF
	v_lshrrev_b32_e32 v3, 6, v0                                // 000000002EF0: 20060086
	v_and_b32_e32 v0, 63, v0                                   // 000000002EF4: 260000BF
	s_mov_b32 s2, s2                                           // 000000002EF8: BE820002
	s_mov_b32 s3, s3                                           // 000000002EFC: BE830003
	s_mov_b32 s4, s4                                           // 000000002F00: BE840004
	v_readfirstlane_b32 s7, v3                                 // 000000002F04: 7E0E0503
	s_waitcnt lgkmcnt(0)                                       // 000000002F08: BF8CC07F
	s_and_b32 s51, s51, 0xffff                                 // 000000002F0C: 8633FF33 0000FFFF
	s_load_dword s50, s[50:51], 0x0                            // 000000002F14: C0020C99 00000000
	s_and_b32 s45, s45, 0xffff                                 // 000000002F1C: 862DFF2D 0000FFFF
	s_and_b32 s47, s47, 0xffff                                 // 000000002F24: 862FFF2F 0000FFFF
	s_and_b32 s9, s9, 0xffff                                   // 000000002F2C: 8609FF09 0000FFFF
	s_mul_i32 s60, s66, s68                                    // 000000002F34: 923C4442
	s_mul_i32 s61, s66, 4                                      // 000000002F38: 923D8442
	s_mov_b32 s22, s60                                         // 000000002F3C: BE96003C
	s_mov_b32 s26, 0x80000000                                  // 000000002F40: BE9A00FF 80000000
	s_mov_b32 s14, 0x80000000                                  // 000000002F48: BE8E00FF 80000000
	s_mov_b32 s42, 0x80000000                                  // 000000002F50: BEAA00FF 80000000
	s_mov_b32 s30, s61                                         // 000000002F58: BE9E003D
	s_mov_b32 s34, 0x400                                       // 000000002F5C: BEA200FF 00000400
	s_mov_b32 s38, 0x400                                       // 000000002F64: BEA600FF 00000400
	s_mov_b32 s18, 0x80000000                                  // 000000002F6C: BE9200FF 80000000
	s_mov_b32 s23, 0x20000                                     // 000000002F74: BE9700FF 00020000
	s_mov_b32 s27, 0x20000                                     // 000000002F7C: BE9B00FF 00020000
	s_mov_b32 s15, 0x20000                                     // 000000002F84: BE8F00FF 00020000
	s_mov_b32 s43, 0x20000                                     // 000000002F8C: BEAB00FF 00020000
	s_mov_b32 s31, 0x20000                                     // 000000002F94: BE9F00FF 00020000
	s_mov_b32 s35, 0x20000                                     // 000000002F9C: BEA300FF 00020000
	s_mov_b32 s39, 0x20000                                     // 000000002FA4: BEA700FF 00020000
	s_mov_b32 s19, 0x20000                                     // 000000002FAC: BE9300FF 00020000
	s_and_b32 s21, s21, 0xffff                                 // 000000002FB4: 8615FF15 0000FFFF
	s_and_b32 s25, s25, 0xffff                                 // 000000002FBC: 8619FF19 0000FFFF
	s_and_b32 s13, s13, 0xffff                                 // 000000002FC4: 860DFF0D 0000FFFF
	s_and_b32 s41, s41, 0xffff                                 // 000000002FCC: 8629FF29 0000FFFF
	s_and_b32 s29, s29, 0xffff                                 // 000000002FD4: 861DFF1D 0000FFFF
	s_and_b32 s33, s33, 0xffff                                 // 000000002FDC: 8621FF21 0000FFFF
	s_and_b32 s37, s37, 0xffff                                 // 000000002FE4: 8625FF25 0000FFFF
	s_and_b32 s17, s17, 0xffff                                 // 000000002FEC: 8611FF11 0000FFFF
	s_or_b32 s21, s21, 0x40000                                 // 000000002FF4: 8715FF15 00040000
	s_or_b32 s25, s25, 0x40000                                 // 000000002FFC: 8719FF19 00040000
	s_or_b32 s13, s13, 0x40000                                 // 000000003004: 870DFF0D 00040000
	s_or_b32 s41, s41, 0x40000                                 // 00000000300C: 8729FF29 00040000
	s_or_b32 s29, s29, 0x40000                                 // 000000003014: 871DFF1D 00040000
	s_or_b32 s33, s33, 0x40000                                 // 00000000301C: 8721FF21 00040000
	s_or_b32 s37, s37, 0x40000                                 // 000000003024: 8725FF25 00040000
	s_or_b32 s17, s17, 0x40000                                 // 00000000302C: 8711FF11 00040000
	v_accvgpr_write_b32 a127, 0                                // 000000003034: D3D9407F 18000080
	v_mov_b32_e32 v223, 0                                      // 00000000303C: 7FBE0280
	s_waitcnt lgkmcnt(0)                                       // 000000003040: BF8CC07F
	s_mul_i32 s60, s3, 32                                      // 000000003044: 923CA003
	s_cmp_lt_i32 s60, s50                                      // 000000003048: BF04323C
	s_cbranch_scc0 label_18EB                                  // 00000000304C: BF841857
	s_mov_b32 s80, 0                                           // 000000003050: BED00080
	s_mov_b32 s81, s64                                         // 000000003054: BED10040
	s_mul_i32 s60, s3, 4                                       // 000000003058: 923C8403
	s_add_u32 s46, s60, s46                                    // 00000000305C: 802E2E3C
	s_addc_u32 s47, 0, s47                                     // 000000003060: 822F2F80
	s_load_dword s5, s[46:47], 0x0                             // 000000003064: C0020157 00000000
	s_mul_i32 s60, s3, 32                                      // 00000000306C: 923CA003
	s_mul_i32 s60, 4, s60                                      // 000000003070: 923C3C84
	v_and_b32_e32 v46, 15, v0                                  // 000000003074: 265C008F
	v_lshlrev_b32_e32 v46, 2, v46                              // 000000003078: 245C5C82
	v_add_u32_e32 v46, s60, v46                                // 00000000307C: 685C5C3C
	v_mov_b32_e32 v47, 0                                       // 000000003080: 7E5E0280
	global_load_dword v6, v46, s[44:45]                        // 000000003084: DC508000 062C002E
	v_add_u32_e32 v46, 64, v46                                 // 00000000308C: 685C5CC0
	global_load_dword v7, v46, s[44:45]                        // 000000003090: DC508000 072C002E
	s_mul_i32 s60, s3, 32                                      // 000000003098: 923CA003
	s_add_u32 s60, s7, s60                                     // 00000000309C: 803C3C07
	s_mul_i32 s60, 4, s60                                      // 0000000030A0: 923C3C84
	s_add_u32 s44, s60, s44                                    // 0000000030A4: 802C2C3C
	s_addc_u32 s45, 0, s45                                     // 0000000030A8: 822D2D80
	s_load_dword s82, s[44:45], 0x0                            // 0000000030AC: C0021496 00000000
	s_load_dword s83, s[44:45], 0x10                           // 0000000030B4: C00214D6 00000010
	s_load_dword s84, s[44:45], 0x20                           // 0000000030BC: C0021516 00000020
	s_load_dword s85, s[44:45], 0x30                           // 0000000030C4: C0021556 00000030
	s_load_dword s86, s[44:45], 0x40                           // 0000000030CC: C0021596 00000040
	s_load_dword s87, s[44:45], 0x50                           // 0000000030D4: C00215D6 00000050
	s_load_dword s88, s[44:45], 0x60                           // 0000000030DC: C0021616 00000060
	s_load_dword s89, s[44:45], 0x70                           // 0000000030E4: C0021656 00000070
	s_waitcnt lgkmcnt(0)                                       // 0000000030EC: BF8CC07F
	v_lshlrev_b32_e32 v46, 2, v0                               // 0000000030F0: 245C0082
	s_and_b32 s82, s82, 0xffffff                               // 0000000030F4: 8652FF52 00FFFFFF
	s_mul_i32 s60, s82, s68                                    // 0000000030FC: 923C4452
	v_add_u32_e64 v24, v46, s60                                // 000000003100: D1340018 0000792E
	s_and_b32 s83, s83, 0xffffff                               // 000000003108: 8653FF53 00FFFFFF
	s_mul_i32 s60, s83, s68                                    // 000000003110: 923C4453
	v_add_u32_e64 v25, v46, s60                                // 000000003114: D1340019 0000792E
	s_and_b32 s84, s84, 0xffffff                               // 00000000311C: 8654FF54 00FFFFFF
	s_mul_i32 s60, s84, s68                                    // 000000003124: 923C4454
	v_add_u32_e64 v26, v46, s60                                // 000000003128: D134001A 0000792E
	s_and_b32 s85, s85, 0xffffff                               // 000000003130: 8655FF55 00FFFFFF
	s_mul_i32 s60, s85, s68                                    // 000000003138: 923C4455
	v_add_u32_e64 v27, v46, s60                                // 00000000313C: D134001B 0000792E
	s_and_b32 s86, s86, 0xffffff                               // 000000003144: 8656FF56 00FFFFFF
	s_mul_i32 s60, s86, s68                                    // 00000000314C: 923C4456
	v_add_u32_e64 v28, v46, s60                                // 000000003150: D134001C 0000792E
	s_and_b32 s87, s87, 0xffffff                               // 000000003158: 8657FF57 00FFFFFF
	s_mul_i32 s60, s87, s68                                    // 000000003160: 923C4457
	v_add_u32_e64 v29, v46, s60                                // 000000003164: D134001D 0000792E
	s_and_b32 s88, s88, 0xffffff                               // 00000000316C: 8658FF58 00FFFFFF
	s_mul_i32 s60, s88, s68                                    // 000000003174: 923C4458
	v_add_u32_e64 v30, v46, s60                                // 000000003178: D134001E 0000792E
	s_and_b32 s89, s89, 0xffffff                               // 000000003180: 8659FF59 00FFFFFF
	s_mul_i32 s60, s89, s68                                    // 000000003188: 923C4459
	v_add_u32_e64 v31, v46, s60                                // 00000000318C: D134001F 0000792E
	v_lshlrev_b32_e32 v46, 2, v0                               // 000000003194: 245C0082
	s_mul_i32 s60, s82, s71                                    // 000000003198: 923C4752
	v_add_u32_e64 v80, v46, s60                                // 00000000319C: D1340050 0000792E
	v_mov_b32_e32 v81, 0                                       // 0000000031A4: 7EA20280
	s_mul_i32 s60, s83, s71                                    // 0000000031A8: 923C4753
	v_add_u32_e64 v82, v46, s60                                // 0000000031AC: D1340052 0000792E
	v_mov_b32_e32 v83, 0                                       // 0000000031B4: 7EA60280
	s_mul_i32 s60, s84, s71                                    // 0000000031B8: 923C4754
	v_add_u32_e64 v84, v46, s60                                // 0000000031BC: D1340054 0000792E
	v_mov_b32_e32 v85, 0                                       // 0000000031C4: 7EAA0280
	s_mul_i32 s60, s85, s71                                    // 0000000031C8: 923C4755
	v_add_u32_e64 v86, v46, s60                                // 0000000031CC: D1340056 0000792E
	v_mov_b32_e32 v87, 0                                       // 0000000031D4: 7EAE0280
	s_mul_i32 s60, s86, s71                                    // 0000000031D8: 923C4756
	v_add_u32_e64 v88, v46, s60                                // 0000000031DC: D1340058 0000792E
	v_mov_b32_e32 v89, 0                                       // 0000000031E4: 7EB20280
	s_mul_i32 s60, s87, s71                                    // 0000000031E8: 923C4757
	v_add_u32_e64 v90, v46, s60                                // 0000000031EC: D134005A 0000792E
	v_mov_b32_e32 v91, 0                                       // 0000000031F4: 7EB60280
	s_mul_i32 s60, s88, s71                                    // 0000000031F8: 923C4758
	v_add_u32_e64 v92, v46, s60                                // 0000000031FC: D134005C 0000792E
	v_mov_b32_e32 v93, 0                                       // 000000003204: 7EBA0280
	s_mul_i32 s60, s89, s71                                    // 000000003208: 923C4759
	v_add_u32_e64 v94, v46, s60                                // 00000000320C: D134005E 0000792E
	v_mov_b32_e32 v95, 0                                       // 000000003214: 7EBE0280
	s_mul_i32 s60, s7, 0x820                                   // 000000003218: 923CFF07 00000820
	s_add_u32 s50, 0, s60                                      // 000000003220: 80323C80
	s_add_u32 s51, 0x2080, s50                                 // 000000003224: 803332FF 00002080
	v_lshrrev_b32_e32 v46, 4, v0                               // 00000000322C: 205C0084
	v_lshlrev_b32_e32 v47, 2, v46                              // 000000003230: 245E5C82
	v_and_b32_e32 v46, 15, v0                                  // 000000003234: 265C008F
	v_lshrrev_b32_e32 v48, 2, v46                              // 000000003238: 20605C82
	v_lshlrev_b32_e32 v48, 6, v48                              // 00000000323C: 24606086
	v_add_u32_e32 v47, v48, v47                                // 000000003240: 685E5F30
	v_and_b32_e32 v46, 3, v0                                   // 000000003244: 265C0083
	v_mul_i32_i24_e32 v48, 0x208, v46                          // 000000003248: 0C605CFF 00000208
	v_add_u32_e32 v47, v48, v47                                // 000000003250: 685E5F30
	v_lshlrev_b32_e32 v2, 2, v47                               // 000000003254: 24045E82
	s_mul_i32 s60, s2, 0x100                                   // 000000003258: 923CFF02 00000100
	s_mul_i32 s60, s60, s69                                    // 000000003260: 923C453C
	s_mul_i32 s61, s5, s72                                     // 000000003264: 923D4805
	s_add_u32 s60, s61, s60                                    // 000000003268: 803C3C3D
	s_add_u32 s24, s60, s24                                    // 00000000326C: 8018183C
	s_addc_u32 s25, 0, s25                                     // 000000003270: 82191980
	s_mul_i32 s60, s7, 16                                      // 000000003274: 923C9007
	s_mul_i32 s60, s60, s69                                    // 000000003278: 923C453C
	v_lshlrev_b32_e32 v32, 4, v0                               // 00000000327C: 24400084
	v_add_u32_e32 v32, s60, v32                                // 000000003280: 6840403C
	s_mul_i32 s60, 64, s69                                     // 000000003284: 923C45C0
	v_add_u32_e32 v33, s60, v32                                // 000000003288: 6842403C
	v_add_u32_e32 v34, s60, v33                                // 00000000328C: 6844423C
	v_add_u32_e32 v35, s60, v34                                // 000000003290: 6846443C
	s_mov_b32 s92, s24                                         // 000000003294: BEDC0018
	s_mov_b32 s93, s25                                         // 000000003298: BEDD0019
	s_mov_b32 s94, s26                                         // 00000000329C: BEDE001A
	s_mov_b32 s95, s27                                         // 0000000032A0: BEDF001B
	s_mul_i32 s60, s69, s65                                    // 0000000032A4: 923C4145
	s_add_u32 s92, s60, s92                                    // 0000000032A8: 805C5C3C
	s_addc_u32 s93, 0, s93                                     // 0000000032AC: 825D5D80
	s_mul_i32 s60, s2, 0x1000                                  // 0000000032B0: 923CFF02 00001000
	s_mul_i32 s61, s5, s73                                     // 0000000032B8: 923D4905
	s_add_u32 s60, s61, s60                                    // 0000000032BC: 803C3C3D
	s_add_u32 s12, s60, s12                                    // 0000000032C0: 800C0C3C
	s_addc_u32 s13, 0, s13                                     // 0000000032C4: 820D0D80
	s_mul_i32 s60, s7, 16                                      // 0000000032C8: 923C9007
	s_mul_i32 s60, s60, s70                                    // 0000000032CC: 923C463C
	v_lshlrev_b32_e32 v36, 4, v0                               // 0000000032D0: 24480084
	v_add_u32_e32 v36, s60, v36                                // 0000000032D4: 6848483C
	s_mul_i32 s60, 64, s70                                     // 0000000032D8: 923C46C0
	v_add_u32_e32 v37, s60, v36                                // 0000000032DC: 684A483C
	v_add_u32_e32 v38, s60, v37                                // 0000000032E0: 684C4A3C
	v_add_u32_e32 v39, s60, v38                                // 0000000032E4: 684E4C3C
	s_mul_i32 s60, s70, 0x100                                  // 0000000032E8: 923CFF46 00000100
	s_mov_b32 s78, 0x400                                       // 0000000032F0: BECE00FF 00000400
	s_mul_i32 s61, s78, 3                                      // 0000000032F8: 923D834E
	s_sub_u32 s56, s60, s61                                    // 0000000032FC: 80B83D3C
	s_mul_i32 s60, s3, 32                                      // 000000003300: 923CA003
	s_mul_i32 s60, 4, s60                                      // 000000003304: 923C3C84
	s_add_u32 s40, s60, s40                                    // 000000003308: 8028283C
	s_addc_u32 s41, 0, s41                                     // 00000000330C: 82292980
	v_and_b32_e32 v46, 15, v0                                  // 000000003310: 265C008F
	v_lshlrev_b32_e32 v8, 2, v46                               // 000000003314: 24105C82
	v_add_u32_e32 v9, 64, v8                                   // 000000003318: 681210C0
	v_lshrrev_b32_e32 v46, 4, v0                               // 00000000331C: 205C0084
	v_lshlrev_b32_e32 v47, 2, v46                              // 000000003320: 245E5C82
	v_and_b32_e32 v46, 15, v0                                  // 000000003324: 265C008F
	v_lshrrev_b32_e32 v48, 2, v46                              // 000000003328: 20605C82
	v_lshlrev_b32_e32 v48, 6, v48                              // 00000000332C: 24606086
	v_add_u32_e32 v47, v48, v47                                // 000000003330: 685E5F30
	v_and_b32_e32 v46, 3, v0                                   // 000000003334: 265C0083
	v_add_u32_e32 v47, v46, v47                                // 000000003338: 685E5F2E
	v_lshlrev_b32_e32 v10, 2, v47                              // 00000000333C: 24145E82
	v_add_u32_e32 v11, 0x400, v10                              // 000000003340: 681614FF 00000400
	s_mul_i32 s60, s7, 16                                      // 000000003348: 923C9007
	s_mul_i32 s60, s60, 4                                      // 00000000334C: 923C843C
	v_add_u32_e32 v10, s60, v10                                // 000000003350: 6814143C
	v_add_u32_e32 v11, s60, v11                                // 000000003354: 6816163C
	v_mov_b32_e32 v5, v10                                      // 000000003358: 7E0A030A
	s_mul_i32 s60, s2, 0x100                                   // 00000000335C: 923CFF02 00000100
	s_mul_i32 s60, s60, 4                                      // 000000003364: 923C843C
	s_mul_i32 s61, s5, s74                                     // 000000003368: 923D4A05
	s_add_u32 s61, s61, s60                                    // 00000000336C: 803D3C3D
	s_mul_i32 s62, s5, s76                                     // 000000003370: 923E4C05
	s_add_u32 s62, s62, s60                                    // 000000003374: 803E3C3E
	s_add_u32 s32, s61, s32                                    // 000000003378: 8020203D
	s_addc_u32 s33, 0, s33                                     // 00000000337C: 82212180
	s_add_u32 s36, s62, s36                                    // 000000003380: 8024243E
	s_addc_u32 s37, 0, s37                                     // 000000003384: 82252580
	s_mul_i32 s60, s5, s75                                     // 000000003388: 923C4B05
	s_add_u32 s16, s60, s16                                    // 00000000338C: 8010103C
	s_addc_u32 s17, 0, s17                                     // 000000003390: 82111180
	s_mov_b32 s57, 0x100                                       // 000000003394: BEB900FF 00000100
	s_mov_b32 s58, 0x1000                                      // 00000000339C: BEBA00FF 00001000
	s_mov_b32 s79, 0x400                                       // 0000000033A4: BECF00FF 00000400
	s_mov_b32 s59, 0x200                                       // 0000000033AC: BEBB00FF 00000200
	s_mov_b32 s90, s58                                         // 0000000033B4: BEDA003A
	s_mov_b32 s52, 0x7060302                                   // 0000000033B8: BEB400FF 07060302
	s_mov_b32 s53, 0x400                                       // 0000000033C0: BEB500FF 00000400
	s_mov_b32 s54, 0x40100                                     // 0000000033C8: BEB600FF 00040100
	s_mov_b32 s55, 0x4020100                                   // 0000000033D0: BEB700FF 04020100
	s_mov_b32 s6, 0x3fb8aa3b                                   // 0000000033D8: BE8600FF 3FB8AA3B
	s_mov_b32 s77, 0xbd92220c                                  // 0000000033E0: BECD00FF BD92220C
	s_mov_b32 m0, s50                                          // 0000000033E8: BEFC0032
	v_mov_b32_e32 v1, 0xbfcc4231                               // 0000000033EC: 7E0202FF BFCC4231
	v_mov_b32_e32 v41, 0xffff0000                              // 0000000033F4: 7E5202FF FFFF0000
	v_mov_b32_e32 v42, 0x7fff0000                              // 0000000033FC: 7E5402FF 7FFF0000
	v_mov_b32_e32 v43, 0x7fff                                  // 000000003404: 7E5602FF 00007FFF
	s_waitcnt vmcnt(0) expcnt(0) lgkmcnt(0)                    // 00000000340C: BF8C0000
	v_and_b32_e32 v6, 0xffffff, v6                             // 000000003410: 260C0CFF 00FFFFFF
	v_and_b32_e32 v7, 0xffffff, v7                             // 000000003418: 260E0EFF 00FFFFFF
	v_lshlrev_b32_e32 v6, 2, v6                                // 000000003420: 240C0C82
	v_lshlrev_b32_e32 v7, 2, v7                                // 000000003424: 240E0E82
	buffer_load_dword v13, v6, s[28:31], 0 offen               // 000000003428: E0501000 80070D06
	buffer_load_dword v14, v7, s[28:31], 0 offen               // 000000003430: E0501000 80070E07
	buffer_load_dword v15, v10, s[32:35], 0 offen              // 000000003438: E0501000 80080F0A
	buffer_load_dword v16, v11, s[32:35], 0 offen              // 000000003440: E0501000 8008100B
	s_mul_i32 s60, 4, s65                                      // 000000003448: 923C4184
	s_add_u32 s32, s60, s32                                    // 00000000344C: 8020203C
	s_addc_u32 s33, 0, s33                                     // 000000003450: 82212180
	buffer_load_dword v44, v10, s[32:35], 0 offen              // 000000003454: E0501000 80082C0A
	buffer_load_dword v45, v11, s[32:35], 0 offen              // 00000000345C: E0501000 80082D0B
	buffer_load_dword v17, v8, s[40:43], 0 offen               // 000000003464: E0501000 800A1108
	buffer_load_dword v18, v9, s[40:43], 0 offen               // 00000000346C: E0501000 800A1209
	buffer_load_dword v24, s[20:23], 0 offen lds               // 000000003474: E0511000 80050018
	s_add_u32 m0, 0x100, s50                                   // 00000000347C: 807C32FF 00000100
	buffer_load_dword v25, s[20:23], 0 offen lds               // 000000003484: E0511000 80050019
	s_add_u32 m0, 0x200, s50                                   // 00000000348C: 807C32FF 00000200
	buffer_load_dword v26, s[20:23], 0 offen lds               // 000000003494: E0511000 8005001A
	s_add_u32 m0, 0x300, s50                                   // 00000000349C: 807C32FF 00000300
	buffer_load_dword v27, s[20:23], 0 offen lds               // 0000000034A4: E0511000 8005001B
	s_add_u32 m0, 0x400, s50                                   // 0000000034AC: 807C32FF 00000400
	buffer_load_dword v28, s[20:23], 0 offen lds               // 0000000034B4: E0511000 8005001C
	s_add_u32 m0, 0x500, s50                                   // 0000000034BC: 807C32FF 00000500
	buffer_load_dword v29, s[20:23], 0 offen lds               // 0000000034C4: E0511000 8005001D
	s_add_u32 m0, 0x600, s50                                   // 0000000034CC: 807C32FF 00000600
	buffer_load_dword v30, s[20:23], 0 offen lds               // 0000000034D4: E0511000 8005001E
	s_add_u32 m0, 0x700, s50                                   // 0000000034DC: 807C32FF 00000700
	buffer_load_dword v31, s[20:23], 0 offen lds               // 0000000034E4: E0511000 8005001F
	s_add_u32 m0, 0, s51                                       // 0000000034EC: 807C3380
	s_add_u32 s20, s57, s20                                    // 0000000034F0: 80141439
	s_addc_u32 s21, 0, s21                                     // 0000000034F4: 82151580
	buffer_load_dwordx4 a[0:3], v32, s[24:27], 0 offen         // 0000000034F8: E05C1000 80860020
	buffer_load_dwordx4 a[4:7], v32, s[24:27], 0 offen offset:1024// 000000003500: E05C1400 80860420
	buffer_load_dwordx4 a[8:11], v32, s[24:27], 0 offen offset:2048// 000000003508: E05C1800 80860820
	buffer_load_dwordx4 a[12:15], v32, s[24:27], 0 offen offset:3072// 000000003510: E05C1C00 80860C20
	buffer_load_dwordx4 a[16:19], v33, s[24:27], 0 offen       // 000000003518: E05C1000 80861021
	buffer_load_dwordx4 a[20:23], v33, s[24:27], 0 offen offset:1024// 000000003520: E05C1400 80861421
	buffer_load_dwordx4 a[24:27], v33, s[24:27], 0 offen offset:2048// 000000003528: E05C1800 80861821
	buffer_load_dwordx4 a[28:31], v33, s[24:27], 0 offen offset:3072// 000000003530: E05C1C00 80861C21
	buffer_load_dwordx4 a[32:35], v34, s[24:27], 0 offen       // 000000003538: E05C1000 80862022
	buffer_load_dwordx4 a[36:39], v34, s[24:27], 0 offen offset:1024// 000000003540: E05C1400 80862422
	buffer_load_dwordx4 a[40:43], v34, s[24:27], 0 offen offset:2048// 000000003548: E05C1800 80862822
	buffer_load_dwordx4 a[44:47], v34, s[24:27], 0 offen offset:3072// 000000003550: E05C1C00 80862C22
	buffer_load_dwordx4 a[48:51], v35, s[24:27], 0 offen       // 000000003558: E05C1000 80863023
	buffer_load_dwordx4 a[52:55], v35, s[24:27], 0 offen offset:1024// 000000003560: E05C1400 80863423
	buffer_load_dwordx4 a[56:59], v35, s[24:27], 0 offen offset:2048// 000000003568: E05C1800 80863823
	buffer_load_dwordx4 a[60:63], v35, s[24:27], 0 offen offset:3072// 000000003570: E05C1C00 80863C23
	s_add_u32 s24, s58, s24                                    // 000000003578: 8018183A
	s_addc_u32 s25, 0, s25                                     // 00000000357C: 82191980
	v_mov_b32_e32 v128, 0                                      // 000000003580: 7F000280
	v_mov_b32_e32 v64, 0                                       // 000000003584: 7E800280
	v_mov_b32_e32 v129, 0                                      // 000000003588: 7F020280
	v_mov_b32_e32 v65, 0                                       // 00000000358C: 7E820280
	v_mov_b32_e32 v130, 0                                      // 000000003590: 7F040280
	v_mov_b32_e32 v66, 0                                       // 000000003594: 7E840280
	v_mov_b32_e32 v131, 0                                      // 000000003598: 7F060280
	v_mov_b32_e32 v67, 0                                       // 00000000359C: 7E860280
	v_mov_b32_e32 v132, 0                                      // 0000000035A0: 7F080280
	v_mov_b32_e32 v68, 0                                       // 0000000035A4: 7E880280
	v_mov_b32_e32 v133, 0                                      // 0000000035A8: 7F0A0280
	v_mov_b32_e32 v69, 0                                       // 0000000035AC: 7E8A0280
	v_mov_b32_e32 v134, 0                                      // 0000000035B0: 7F0C0280
	v_mov_b32_e32 v70, 0                                       // 0000000035B4: 7E8C0280
	v_mov_b32_e32 v135, 0                                      // 0000000035B8: 7F0E0280
	v_mov_b32_e32 v71, 0                                       // 0000000035BC: 7E8E0280
	v_mov_b32_e32 v136, 0                                      // 0000000035C0: 7F100280
	v_mov_b32_e32 v72, 0                                       // 0000000035C4: 7E900280
	v_mov_b32_e32 v137, 0                                      // 0000000035C8: 7F120280
	v_mov_b32_e32 v73, 0                                       // 0000000035CC: 7E920280
	v_mov_b32_e32 v138, 0                                      // 0000000035D0: 7F140280
	v_mov_b32_e32 v74, 0                                       // 0000000035D4: 7E940280
	v_mov_b32_e32 v139, 0                                      // 0000000035D8: 7F160280
	v_mov_b32_e32 v75, 0                                       // 0000000035DC: 7E960280
	v_mov_b32_e32 v140, 0                                      // 0000000035E0: 7F180280
	v_mov_b32_e32 v76, 0                                       // 0000000035E4: 7E980280
	v_mov_b32_e32 v141, 0                                      // 0000000035E8: 7F1A0280
	v_mov_b32_e32 v77, 0                                       // 0000000035EC: 7E9A0280
	v_mov_b32_e32 v142, 0                                      // 0000000035F0: 7F1C0280
	v_mov_b32_e32 v78, 0                                       // 0000000035F4: 7E9C0280
	v_mov_b32_e32 v143, 0                                      // 0000000035F8: 7F1E0280
	v_mov_b32_e32 v79, 0                                       // 0000000035FC: 7E9E0280
	v_mov_b32_e32 v144, 0                                      // 000000003600: 7F200280
	v_mov_b32_e32 v80, 0                                       // 000000003604: 7EA00280
	v_mov_b32_e32 v145, 0                                      // 000000003608: 7F220280
	v_mov_b32_e32 v81, 0                                       // 00000000360C: 7EA20280
	v_mov_b32_e32 v146, 0                                      // 000000003610: 7F240280
	v_mov_b32_e32 v82, 0                                       // 000000003614: 7EA40280
	v_mov_b32_e32 v147, 0                                      // 000000003618: 7F260280
	v_mov_b32_e32 v83, 0                                       // 00000000361C: 7EA60280
	v_mov_b32_e32 v148, 0                                      // 000000003620: 7F280280
	v_mov_b32_e32 v84, 0                                       // 000000003624: 7EA80280
	v_mov_b32_e32 v149, 0                                      // 000000003628: 7F2A0280
	v_mov_b32_e32 v85, 0                                       // 00000000362C: 7EAA0280
	v_mov_b32_e32 v150, 0                                      // 000000003630: 7F2C0280
	v_mov_b32_e32 v86, 0                                       // 000000003634: 7EAC0280
	v_mov_b32_e32 v151, 0                                      // 000000003638: 7F2E0280
	v_mov_b32_e32 v87, 0                                       // 00000000363C: 7EAE0280
	v_mov_b32_e32 v152, 0                                      // 000000003640: 7F300280
	v_mov_b32_e32 v88, 0                                       // 000000003644: 7EB00280
	v_mov_b32_e32 v153, 0                                      // 000000003648: 7F320280
	v_mov_b32_e32 v89, 0                                       // 00000000364C: 7EB20280
	v_mov_b32_e32 v154, 0                                      // 000000003650: 7F340280
	v_mov_b32_e32 v90, 0                                       // 000000003654: 7EB40280
	v_mov_b32_e32 v155, 0                                      // 000000003658: 7F360280
	v_mov_b32_e32 v91, 0                                       // 00000000365C: 7EB60280
	v_mov_b32_e32 v156, 0                                      // 000000003660: 7F380280
	v_mov_b32_e32 v92, 0                                       // 000000003664: 7EB80280
	v_mov_b32_e32 v157, 0                                      // 000000003668: 7F3A0280
	v_mov_b32_e32 v93, 0                                       // 00000000366C: 7EBA0280
	v_mov_b32_e32 v158, 0                                      // 000000003670: 7F3C0280
	v_mov_b32_e32 v94, 0                                       // 000000003674: 7EBC0280
	v_mov_b32_e32 v159, 0                                      // 000000003678: 7F3E0280
	v_mov_b32_e32 v95, 0                                       // 00000000367C: 7EBE0280
	v_lshrrev_b32_e32 v46, 4, v0                               // 000000003680: 205C0084
	v_mul_i32_i24_e32 v3, 34, v46                              // 000000003684: 0C065CA2
	v_and_b32_e32 v46, 15, v0                                  // 000000003688: 265C008F
	v_mul_i32_i24_e32 v47, 2, v46                              // 00000000368C: 0C5E5C82
	v_add_u32_e32 v3, v47, v3                                  // 000000003690: 6806072F
	s_mul_i32 s60, s7, 0x88                                    // 000000003694: 923CFF07 00000088
	v_add_u32_e32 v3, s60, v3                                  // 00000000369C: 6806063C
	v_lshlrev_b32_e32 v3, 2, v3                                // 0000000036A0: 24060682
	v_lshrrev_b32_e32 v46, 1, v0                               // 0000000036A4: 205C0081
	v_mul_i32_i24_e32 v4, 34, v46                              // 0000000036A8: 0C085CA2
	v_and_b32_e32 v47, 1, v0                                   // 0000000036AC: 265E0081
	v_add_u32_e32 v4, v47, v4                                  // 0000000036B0: 6808092F
	s_mul_i32 s60, s7, 2                                       // 0000000036B4: 923C8207
	v_add_u32_e32 v4, s60, v4                                  // 0000000036B8: 6808083C
	v_lshlrev_b32_e32 v4, 2, v4                                // 0000000036BC: 24080882
	s_waitcnt vmcnt(16)                                        // 0000000036C0: BF8C4F70
	s_barrier                                                  // 0000000036C4: BF8A0000
	ds_read_b128 v[160:163], v2                                // 0000000036C8: D9FE0000 A0000002
	ds_read_b128 v[164:167], v2 offset:64                      // 0000000036D0: D9FE0040 A4000002
	ds_read_b128 v[168:171], v2 offset:128                     // 0000000036D8: D9FE0080 A8000002
	ds_read_b128 v[172:175], v2 offset:192                     // 0000000036E0: D9FE00C0 AC000002
	ds_read_b128 v[176:179], v2 offset:1024                    // 0000000036E8: D9FE0400 B0000002
	ds_read_b128 v[180:183], v2 offset:1088                    // 0000000036F0: D9FE0440 B4000002
	ds_read_b128 v[184:187], v2 offset:1152                    // 0000000036F8: D9FE0480 B8000002
	ds_read_b128 v[188:191], v2 offset:1216                    // 000000003700: D9FE04C0 BC000002
	s_cmp_lt_i32 s7, 2                                         // 000000003708: BF048207
	s_cbranch_scc0 label_0D99                                  // 00000000370C: BF840B55

0000000000003710 <label_0244>:
	s_waitcnt vmcnt(8) lgkmcnt(0)                              // 000000003710: BF8C0078
	s_barrier                                                  // 000000003714: BF8A0000
	v_mfma_f32_16x16x32_fp8_fp8 v[128:131], a[0:1], v[160:161], v[128:131]// 000000003718: D3F30080 0E034100
	v_mfma_f32_16x16x32_fp8_fp8 v[128:131], a[2:3], v[162:163], v[128:131]// 000000003720: D3F30080 0E034502
	buffer_load_dwordx4 a[64:67], v32, s[92:95], 0 offen       // 000000003728: E05C1000 80974020
	v_mfma_f32_16x16x32_fp8_fp8 v[128:131], a[4:5], v[164:165], v[128:131]// 000000003730: D3F30080 0E034904
	v_mfma_f32_16x16x32_fp8_fp8 v[128:131], a[6:7], v[166:167], v[128:131]// 000000003738: D3F30080 0E034D06
	buffer_load_dword v24, s[20:23], 0 offen lds               // 000000003740: E0511000 80050018
	s_add_u32 m0, 0x100, s51                                   // 000000003748: 807C33FF 00000100
	v_mfma_f32_16x16x32_fp8_fp8 v[128:131], a[8:9], v[168:169], v[128:131]// 000000003750: D3F30080 0E035108
	v_mfma_f32_16x16x32_fp8_fp8 v[128:131], a[10:11], v[170:171], v[128:131]// 000000003758: D3F30080 0E03550A
	buffer_load_dwordx4 a[68:71], v32, s[92:95], 0 offen offset:1024// 000000003760: E05C1400 80974420
	v_mfma_f32_16x16x32_fp8_fp8 v[128:131], a[12:13], v[172:173], v[128:131]// 000000003768: D3F30080 0E03590C
	v_mfma_f32_16x16x32_fp8_fp8 v[128:131], a[14:15], v[174:175], v[128:131]// 000000003770: D3F30080 0E035D0E
	buffer_load_dword v25, s[20:23], 0 offen lds               // 000000003778: E0511000 80050019
	s_add_u32 m0, 0x200, s51                                   // 000000003780: 807C33FF 00000200
	v_mfma_f32_16x16x32_fp8_fp8 v[132:135], a[0:1], v[176:177], v[132:135]// 000000003788: D3F30084 0E136100
	v_mfma_f32_16x16x32_fp8_fp8 v[132:135], a[2:3], v[178:179], v[132:135]// 000000003790: D3F30084 0E136502
	buffer_load_dwordx4 a[72:75], v32, s[92:95], 0 offen offset:2048// 000000003798: E05C1800 80974820
	v_mfma_f32_16x16x32_fp8_fp8 v[132:135], a[4:5], v[180:181], v[132:135]// 0000000037A0: D3F30084 0E136904
	v_mfma_f32_16x16x32_fp8_fp8 v[132:135], a[6:7], v[182:183], v[132:135]// 0000000037A8: D3F30084 0E136D06
	buffer_load_dword v26, s[20:23], 0 offen lds               // 0000000037B0: E0511000 8005001A
	s_add_u32 m0, 0x300, s51                                   // 0000000037B8: 807C33FF 00000300
	v_mfma_f32_16x16x32_fp8_fp8 v[132:135], a[8:9], v[184:185], v[132:135]// 0000000037C0: D3F30084 0E137108
	v_mfma_f32_16x16x32_fp8_fp8 v[132:135], a[10:11], v[186:187], v[132:135]// 0000000037C8: D3F30084 0E13750A
	buffer_load_dwordx4 a[76:79], v32, s[92:95], 0 offen offset:3072// 0000000037D0: E05C1C00 80974C20
	v_mfma_f32_16x16x32_fp8_fp8 v[132:135], a[12:13], v[188:189], v[132:135]// 0000000037D8: D3F30084 0E13790C
	v_mfma_f32_16x16x32_fp8_fp8 v[132:135], a[14:15], v[190:191], v[132:135]// 0000000037E0: D3F30084 0E137D0E
	buffer_load_dword v27, s[20:23], 0 offen lds               // 0000000037E8: E0511000 8005001B
	s_add_u32 m0, 0x400, s51                                   // 0000000037F0: 807C33FF 00000400
	v_mfma_f32_16x16x32_fp8_fp8 v[136:139], a[16:17], v[160:161], v[136:139]// 0000000037F8: D3F30088 0E234110
	v_mfma_f32_16x16x32_fp8_fp8 v[136:139], a[18:19], v[162:163], v[136:139]// 000000003800: D3F30088 0E234512
	buffer_load_dwordx4 a[80:83], v33, s[92:95], 0 offen       // 000000003808: E05C1000 80975021
	v_mfma_f32_16x16x32_fp8_fp8 v[136:139], a[20:21], v[164:165], v[136:139]// 000000003810: D3F30088 0E234914
	v_mfma_f32_16x16x32_fp8_fp8 v[136:139], a[22:23], v[166:167], v[136:139]// 000000003818: D3F30088 0E234D16
	buffer_load_dword v28, s[20:23], 0 offen lds               // 000000003820: E0511000 8005001C
	s_add_u32 m0, 0x500, s51                                   // 000000003828: 807C33FF 00000500
	v_mfma_f32_16x16x32_fp8_fp8 v[136:139], a[24:25], v[168:169], v[136:139]// 000000003830: D3F30088 0E235118
	v_mfma_f32_16x16x32_fp8_fp8 v[136:139], a[26:27], v[170:171], v[136:139]// 000000003838: D3F30088 0E23551A
	buffer_load_dwordx4 a[84:87], v33, s[92:95], 0 offen offset:1024// 000000003840: E05C1400 80975421
	v_mfma_f32_16x16x32_fp8_fp8 v[136:139], a[28:29], v[172:173], v[136:139]// 000000003848: D3F30088 0E23591C
	v_mfma_f32_16x16x32_fp8_fp8 v[136:139], a[30:31], v[174:175], v[136:139]// 000000003850: D3F30088 0E235D1E
	buffer_load_dword v29, s[20:23], 0 offen lds               // 000000003858: E0511000 8005001D
	s_add_u32 m0, 0x600, s51                                   // 000000003860: 807C33FF 00000600
	v_mfma_f32_16x16x32_fp8_fp8 v[140:143], a[16:17], v[176:177], v[140:143]// 000000003868: D3F3008C 0E336110
	v_mfma_f32_16x16x32_fp8_fp8 v[140:143], a[18:19], v[178:179], v[140:143]// 000000003870: D3F3008C 0E336512
	buffer_load_dwordx4 a[88:91], v33, s[92:95], 0 offen offset:2048// 000000003878: E05C1800 80975821
	v_mfma_f32_16x16x32_fp8_fp8 v[140:143], a[20:21], v[180:181], v[140:143]// 000000003880: D3F3008C 0E336914
	v_mfma_f32_16x16x32_fp8_fp8 v[140:143], a[22:23], v[182:183], v[140:143]// 000000003888: D3F3008C 0E336D16
	buffer_load_dword v30, s[20:23], 0 offen lds               // 000000003890: E0511000 8005001E
	s_add_u32 m0, 0x700, s51                                   // 000000003898: 807C33FF 00000700
	v_mfma_f32_16x16x32_fp8_fp8 v[140:143], a[24:25], v[184:185], v[140:143]// 0000000038A0: D3F3008C 0E337118
	v_mfma_f32_16x16x32_fp8_fp8 v[140:143], a[26:27], v[186:187], v[140:143]// 0000000038A8: D3F3008C 0E33751A
	buffer_load_dwordx4 a[92:95], v33, s[92:95], 0 offen offset:3072// 0000000038B0: E05C1C00 80975C21
	v_mfma_f32_16x16x32_fp8_fp8 v[140:143], a[28:29], v[188:189], v[140:143]// 0000000038B8: D3F3008C 0E33791C
	v_mfma_f32_16x16x32_fp8_fp8 v[140:143], a[30:31], v[190:191], v[140:143]// 0000000038C0: D3F3008C 0E337D1E
	buffer_load_dword v31, s[20:23], 0 offen lds               // 0000000038C8: E0511000 8005001F
	s_add_u32 m0, 0, s50                                       // 0000000038D0: 807C3280
	s_waitcnt vmcnt(20)                                        // 0000000038D4: BF8C4F74
	v_mfma_f32_16x16x32_fp8_fp8 v[144:147], a[32:33], v[160:161], v[144:147]// 0000000038D8: D3F30090 0E434120
	v_mfma_f32_16x16x32_fp8_fp8 v[144:147], a[34:35], v[162:163], v[144:147]// 0000000038E0: D3F30090 0E434522
	buffer_load_dwordx4 a[96:99], v34, s[92:95], 0 offen       // 0000000038E8: E05C1000 80976022
	v_mfma_f32_16x16x32_fp8_fp8 v[144:147], a[36:37], v[164:165], v[144:147]// 0000000038F0: D3F30090 0E434924
	v_mfma_f32_16x16x32_fp8_fp8 v[144:147], a[38:39], v[166:167], v[144:147]// 0000000038F8: D3F30090 0E434D26
	v_mfma_f32_16x16x32_fp8_fp8 v[144:147], a[40:41], v[168:169], v[144:147]// 000000003900: D3F30090 0E435128
	v_mfma_f32_16x16x32_fp8_fp8 v[144:147], a[42:43], v[170:171], v[144:147]// 000000003908: D3F30090 0E43552A
	buffer_load_dwordx4 a[100:103], v34, s[92:95], 0 offen offset:1024// 000000003910: E05C1400 80976422
	v_mfma_f32_16x16x32_fp8_fp8 v[144:147], a[44:45], v[172:173], v[144:147]// 000000003918: D3F30090 0E43592C
	v_mfma_f32_16x16x32_fp8_fp8 v[144:147], a[46:47], v[174:175], v[144:147]// 000000003920: D3F30090 0E435D2E
	v_mfma_f32_16x16x32_fp8_fp8 v[148:151], a[32:33], v[176:177], v[148:151]// 000000003928: D3F30094 0E536120
	v_mfma_f32_16x16x32_fp8_fp8 v[148:151], a[34:35], v[178:179], v[148:151]// 000000003930: D3F30094 0E536522
	buffer_load_dwordx4 a[104:107], v34, s[92:95], 0 offen offset:2048// 000000003938: E05C1800 80976822
	v_mfma_f32_16x16x32_fp8_fp8 v[148:151], a[36:37], v[180:181], v[148:151]// 000000003940: D3F30094 0E536924
	v_mfma_f32_16x16x32_fp8_fp8 v[148:151], a[38:39], v[182:183], v[148:151]// 000000003948: D3F30094 0E536D26
	v_mfma_f32_16x16x32_fp8_fp8 v[148:151], a[40:41], v[184:185], v[148:151]// 000000003950: D3F30094 0E537128
	v_mfma_f32_16x16x32_fp8_fp8 v[148:151], a[42:43], v[186:187], v[148:151]// 000000003958: D3F30094 0E53752A
	buffer_load_dwordx4 a[108:111], v34, s[92:95], 0 offen offset:3072// 000000003960: E05C1C00 80976C22
	v_mfma_f32_16x16x32_fp8_fp8 v[148:151], a[44:45], v[188:189], v[148:151]// 000000003968: D3F30094 0E53792C
	v_mfma_f32_16x16x32_fp8_fp8 v[148:151], a[46:47], v[190:191], v[148:151]// 000000003970: D3F30094 0E537D2E
	s_waitcnt vmcnt(20)                                        // 000000003978: BF8C4F74
	v_mfma_f32_16x16x32_fp8_fp8 v[152:155], a[48:49], v[160:161], v[152:155]// 00000000397C: D3F30098 0E634130
	v_mfma_f32_16x16x32_fp8_fp8 v[152:155], a[50:51], v[162:163], v[152:155]// 000000003984: D3F30098 0E634532
	buffer_load_dwordx4 a[112:115], v35, s[92:95], 0 offen     // 00000000398C: E05C1000 80977023
	v_mfma_f32_16x16x32_fp8_fp8 v[152:155], a[52:53], v[164:165], v[152:155]// 000000003994: D3F30098 0E634934
	v_mfma_f32_16x16x32_fp8_fp8 v[152:155], a[54:55], v[166:167], v[152:155]// 00000000399C: D3F30098 0E634D36
	v_mfma_f32_16x16x32_fp8_fp8 v[152:155], a[56:57], v[168:169], v[152:155]// 0000000039A4: D3F30098 0E635138
	v_mfma_f32_16x16x32_fp8_fp8 v[152:155], a[58:59], v[170:171], v[152:155]// 0000000039AC: D3F30098 0E63553A
	buffer_load_dwordx4 a[116:119], v35, s[92:95], 0 offen offset:1024// 0000000039B4: E05C1400 80977423
	v_mfma_f32_16x16x32_fp8_fp8 v[152:155], a[60:61], v[172:173], v[152:155]// 0000000039BC: D3F30098 0E63593C
	v_mfma_f32_16x16x32_fp8_fp8 v[152:155], a[62:63], v[174:175], v[152:155]// 0000000039C4: D3F30098 0E635D3E
	v_mfma_f32_16x16x32_fp8_fp8 v[156:159], a[48:49], v[176:177], v[156:159]// 0000000039CC: D3F3009C 0E736130
	v_mfma_f32_16x16x32_fp8_fp8 v[156:159], a[50:51], v[178:179], v[156:159]// 0000000039D4: D3F3009C 0E736532
	buffer_load_dwordx4 a[120:123], v35, s[92:95], 0 offen offset:2048// 0000000039DC: E05C1800 80977823
	v_mfma_f32_16x16x32_fp8_fp8 v[156:159], a[52:53], v[180:181], v[156:159]// 0000000039E4: D3F3009C 0E736934
	v_mfma_f32_16x16x32_fp8_fp8 v[156:159], a[54:55], v[182:183], v[156:159]// 0000000039EC: D3F3009C 0E736D36
	v_mfma_f32_16x16x32_fp8_fp8 v[156:159], a[56:57], v[184:185], v[156:159]// 0000000039F4: D3F3009C 0E737138
	v_mfma_f32_16x16x32_fp8_fp8 v[156:159], a[58:59], v[186:187], v[156:159]// 0000000039FC: D3F3009C 0E73753A
	buffer_load_dwordx4 a[124:127], v35, s[92:95], 0 offen offset:3072// 000000003A04: E05C1C00 80977C23
	v_mfma_f32_16x16x32_fp8_fp8 v[156:159], a[60:61], v[188:189], v[156:159]// 000000003A0C: D3F3009C 0E73793C
	v_mfma_f32_16x16x32_fp8_fp8 v[156:159], a[62:63], v[190:191], v[156:159]// 000000003A14: D3F3009C 0E737D3E
	s_waitcnt vmcnt(8)                                         // 000000003A1C: BF8C0F78
	s_barrier                                                  // 000000003A20: BF8A0000
	v_mfma_f32_16x16x32_fp8_fp8 v[64:67], a[64:65], v[160:161], v[64:67]// 000000003A24: D3F30040 0D034140
	v_mfma_f32_16x16x32_fp8_fp8 v[64:67], a[66:67], v[162:163], v[64:67]// 000000003A2C: D3F30040 0D034542
	buffer_load_dwordx4 a[0:3], v32, s[24:27], 0 offen         // 000000003A34: E05C1000 80860020
	v_mfma_f32_16x16x32_fp8_fp8 v[64:67], a[68:69], v[164:165], v[64:67]// 000000003A3C: D3F30040 0D034944
	v_mfma_f32_16x16x32_fp8_fp8 v[64:67], a[70:71], v[166:167], v[64:67]// 000000003A44: D3F30040 0D034D46
	v_mfma_f32_16x16x32_fp8_fp8 v[64:67], a[72:73], v[168:169], v[64:67]// 000000003A4C: D3F30040 0D035148
	v_mfma_f32_16x16x32_fp8_fp8 v[64:67], a[74:75], v[170:171], v[64:67]// 000000003A54: D3F30040 0D03554A
	buffer_load_dwordx4 a[4:7], v32, s[24:27], 0 offen offset:1024// 000000003A5C: E05C1400 80860420
	v_mfma_f32_16x16x32_fp8_fp8 v[64:67], a[76:77], v[172:173], v[64:67]// 000000003A64: D3F30040 0D03594C
	v_mfma_f32_16x16x32_fp8_fp8 v[64:67], a[78:79], v[174:175], v[64:67]// 000000003A6C: D3F30040 0D035D4E
	v_mfma_f32_16x16x32_fp8_fp8 v[68:71], a[64:65], v[176:177], v[68:71]// 000000003A74: D3F30044 0D136140
	v_mfma_f32_16x16x32_fp8_fp8 v[68:71], a[66:67], v[178:179], v[68:71]// 000000003A7C: D3F30044 0D136542
	buffer_load_dwordx4 a[8:11], v32, s[24:27], 0 offen offset:2048// 000000003A84: E05C1800 80860820
	v_mfma_f32_16x16x32_fp8_fp8 v[68:71], a[68:69], v[180:181], v[68:71]// 000000003A8C: D3F30044 0D136944
	v_mfma_f32_16x16x32_fp8_fp8 v[68:71], a[70:71], v[182:183], v[68:71]// 000000003A94: D3F30044 0D136D46
	v_mfma_f32_16x16x32_fp8_fp8 v[68:71], a[72:73], v[184:185], v[68:71]// 000000003A9C: D3F30044 0D137148
	v_mfma_f32_16x16x32_fp8_fp8 v[68:71], a[74:75], v[186:187], v[68:71]// 000000003AA4: D3F30044 0D13754A
	buffer_load_dwordx4 a[12:15], v32, s[24:27], 0 offen offset:3072// 000000003AAC: E05C1C00 80860C20
	v_mfma_f32_16x16x32_fp8_fp8 v[68:71], a[76:77], v[188:189], v[68:71]// 000000003AB4: D3F30044 0D13794C
	v_mfma_f32_16x16x32_fp8_fp8 v[68:71], a[78:79], v[190:191], v[68:71]// 000000003ABC: D3F30044 0D137D4E
	v_mfma_f32_16x16x32_fp8_fp8 v[72:75], a[80:81], v[160:161], v[72:75]// 000000003AC4: D3F30048 0D234150
	v_mfma_f32_16x16x32_fp8_fp8 v[72:75], a[82:83], v[162:163], v[72:75]// 000000003ACC: D3F30048 0D234552
	buffer_load_dwordx4 a[16:19], v33, s[24:27], 0 offen       // 000000003AD4: E05C1000 80861021
	v_mfma_f32_16x16x32_fp8_fp8 v[72:75], a[84:85], v[164:165], v[72:75]// 000000003ADC: D3F30048 0D234954
	v_mfma_f32_16x16x32_fp8_fp8 v[72:75], a[86:87], v[166:167], v[72:75]// 000000003AE4: D3F30048 0D234D56
	v_mfma_f32_16x16x32_fp8_fp8 v[72:75], a[88:89], v[168:169], v[72:75]// 000000003AEC: D3F30048 0D235158
	v_mfma_f32_16x16x32_fp8_fp8 v[72:75], a[90:91], v[170:171], v[72:75]// 000000003AF4: D3F30048 0D23555A
	buffer_load_dwordx4 a[20:23], v33, s[24:27], 0 offen offset:1024// 000000003AFC: E05C1400 80861421
	v_mfma_f32_16x16x32_fp8_fp8 v[72:75], a[92:93], v[172:173], v[72:75]// 000000003B04: D3F30048 0D23595C
	v_mfma_f32_16x16x32_fp8_fp8 v[72:75], a[94:95], v[174:175], v[72:75]// 000000003B0C: D3F30048 0D235D5E
	v_mfma_f32_16x16x32_fp8_fp8 v[76:79], a[80:81], v[176:177], v[76:79]// 000000003B14: D3F3004C 0D336150
	v_mfma_f32_16x16x32_fp8_fp8 v[76:79], a[82:83], v[178:179], v[76:79]// 000000003B1C: D3F3004C 0D336552
	buffer_load_dwordx4 a[24:27], v33, s[24:27], 0 offen offset:2048// 000000003B24: E05C1800 80861821
	v_mfma_f32_16x16x32_fp8_fp8 v[76:79], a[84:85], v[180:181], v[76:79]// 000000003B2C: D3F3004C 0D336954
	v_mfma_f32_16x16x32_fp8_fp8 v[76:79], a[86:87], v[182:183], v[76:79]// 000000003B34: D3F3004C 0D336D56
	v_mfma_f32_16x16x32_fp8_fp8 v[76:79], a[88:89], v[184:185], v[76:79]// 000000003B3C: D3F3004C 0D337158
	v_mfma_f32_16x16x32_fp8_fp8 v[76:79], a[90:91], v[186:187], v[76:79]// 000000003B44: D3F3004C 0D33755A
	buffer_load_dwordx4 a[28:31], v33, s[24:27], 0 offen offset:3072// 000000003B4C: E05C1C00 80861C21
	v_mfma_f32_16x16x32_fp8_fp8 v[76:79], a[92:93], v[188:189], v[76:79]// 000000003B54: D3F3004C 0D33795C
	v_mfma_f32_16x16x32_fp8_fp8 v[76:79], a[94:95], v[190:191], v[76:79]// 000000003B5C: D3F3004C 0D337D5E
	s_waitcnt vmcnt(12)                                        // 000000003B64: BF8C0F7C
	v_mfma_f32_16x16x32_fp8_fp8 v[80:83], a[96:97], v[160:161], v[80:83]// 000000003B68: D3F30050 0D434160
	v_mfma_f32_16x16x32_fp8_fp8 v[80:83], a[98:99], v[162:163], v[80:83]// 000000003B70: D3F30050 0D434562
	buffer_load_dwordx4 a[32:35], v34, s[24:27], 0 offen       // 000000003B78: E05C1000 80862022
	v_mfma_f32_16x16x32_fp8_fp8 v[80:83], a[100:101], v[164:165], v[80:83]// 000000003B80: D3F30050 0D434964
	v_mfma_f32_16x16x32_fp8_fp8 v[80:83], a[102:103], v[166:167], v[80:83]// 000000003B88: D3F30050 0D434D66
	ds_read_b128 v[192:195], v2 offset:8320                    // 000000003B90: D9FE2080 C0000002
	v_mfma_f32_16x16x32_fp8_fp8 v[80:83], a[104:105], v[168:169], v[80:83]// 000000003B98: D3F30050 0D435168
	v_mfma_f32_16x16x32_fp8_fp8 v[80:83], a[106:107], v[170:171], v[80:83]// 000000003BA0: D3F30050 0D43556A
	buffer_load_dwordx4 a[36:39], v34, s[24:27], 0 offen offset:1024// 000000003BA8: E05C1400 80862422
	v_mfma_f32_16x16x32_fp8_fp8 v[80:83], a[108:109], v[172:173], v[80:83]// 000000003BB0: D3F30050 0D43596C
	v_mfma_f32_16x16x32_fp8_fp8 v[80:83], a[110:111], v[174:175], v[80:83]// 000000003BB8: D3F30050 0D435D6E
	ds_read_b128 v[196:199], v2 offset:8384                    // 000000003BC0: D9FE20C0 C4000002
	v_mfma_f32_16x16x32_fp8_fp8 v[84:87], a[96:97], v[176:177], v[84:87]// 000000003BC8: D3F30054 0D536160
	v_mfma_f32_16x16x32_fp8_fp8 v[84:87], a[98:99], v[178:179], v[84:87]// 000000003BD0: D3F30054 0D536562
	buffer_load_dwordx4 a[40:43], v34, s[24:27], 0 offen offset:2048// 000000003BD8: E05C1800 80862822
	v_mfma_f32_16x16x32_fp8_fp8 v[84:87], a[100:101], v[180:181], v[84:87]// 000000003BE0: D3F30054 0D536964
	v_mfma_f32_16x16x32_fp8_fp8 v[84:87], a[102:103], v[182:183], v[84:87]// 000000003BE8: D3F30054 0D536D66
	ds_read_b128 v[200:203], v2 offset:8448                    // 000000003BF0: D9FE2100 C8000002
	v_mfma_f32_16x16x32_fp8_fp8 v[84:87], a[104:105], v[184:185], v[84:87]// 000000003BF8: D3F30054 0D537168
	v_mfma_f32_16x16x32_fp8_fp8 v[84:87], a[106:107], v[186:187], v[84:87]// 000000003C00: D3F30054 0D53756A
	buffer_load_dwordx4 a[44:47], v34, s[24:27], 0 offen offset:3072// 000000003C08: E05C1C00 80862C22
	v_mfma_f32_16x16x32_fp8_fp8 v[84:87], a[108:109], v[188:189], v[84:87]// 000000003C10: D3F30054 0D53796C
	v_mfma_f32_16x16x32_fp8_fp8 v[84:87], a[110:111], v[190:191], v[84:87]// 000000003C18: D3F30054 0D537D6E
	ds_read_b128 v[204:207], v2 offset:8512                    // 000000003C20: D9FE2140 CC000002
	s_waitcnt vmcnt(12)                                        // 000000003C28: BF8C0F7C
	v_mfma_f32_16x16x32_fp8_fp8 v[88:91], a[112:113], v[160:161], v[88:91]// 000000003C2C: D3F30058 0D634170
	v_mfma_f32_16x16x32_fp8_fp8 v[88:91], a[114:115], v[162:163], v[88:91]// 000000003C34: D3F30058 0D634572
	buffer_load_dwordx4 a[48:51], v35, s[24:27], 0 offen       // 000000003C3C: E05C1000 80863023
	v_mfma_f32_16x16x32_fp8_fp8 v[88:91], a[116:117], v[164:165], v[88:91]// 000000003C44: D3F30058 0D634974
	v_mfma_f32_16x16x32_fp8_fp8 v[88:91], a[118:119], v[166:167], v[88:91]// 000000003C4C: D3F30058 0D634D76
	ds_read_b128 v[208:211], v2 offset:9344                    // 000000003C54: D9FE2480 D0000002
	v_mfma_f32_16x16x32_fp8_fp8 v[88:91], a[120:121], v[168:169], v[88:91]// 000000003C5C: D3F30058 0D635178
	v_mfma_f32_16x16x32_fp8_fp8 v[88:91], a[122:123], v[170:171], v[88:91]// 000000003C64: D3F30058 0D63557A
	buffer_load_dwordx4 a[52:55], v35, s[24:27], 0 offen offset:1024// 000000003C6C: E05C1400 80863423
	v_mfma_f32_16x16x32_fp8_fp8 v[88:91], a[124:125], v[172:173], v[88:91]// 000000003C74: D3F30058 0D63597C
	v_mfma_f32_16x16x32_fp8_fp8 v[88:91], a[126:127], v[174:175], v[88:91]// 000000003C7C: D3F30058 0D635D7E
	ds_read_b128 v[212:215], v2 offset:9408                    // 000000003C84: D9FE24C0 D4000002
	v_mfma_f32_16x16x32_fp8_fp8 v[92:95], a[112:113], v[176:177], v[92:95]// 000000003C8C: D3F3005C 0D736170
	v_mfma_f32_16x16x32_fp8_fp8 v[92:95], a[114:115], v[178:179], v[92:95]// 000000003C94: D3F3005C 0D736572
	buffer_load_dwordx4 a[56:59], v35, s[24:27], 0 offen offset:2048// 000000003C9C: E05C1800 80863823
	v_mfma_f32_16x16x32_fp8_fp8 v[92:95], a[116:117], v[180:181], v[92:95]// 000000003CA4: D3F3005C 0D736974
	v_mfma_f32_16x16x32_fp8_fp8 v[92:95], a[118:119], v[182:183], v[92:95]// 000000003CAC: D3F3005C 0D736D76
	ds_read_b128 v[216:219], v2 offset:9472                    // 000000003CB4: D9FE2500 D8000002
	v_mfma_f32_16x16x32_fp8_fp8 v[92:95], a[120:121], v[184:185], v[92:95]// 000000003CBC: D3F3005C 0D737178
	v_mfma_f32_16x16x32_fp8_fp8 v[92:95], a[122:123], v[186:187], v[92:95]// 000000003CC4: D3F3005C 0D73757A
	buffer_load_dwordx4 a[60:63], v35, s[24:27], 0 offen offset:3072// 000000003CCC: E05C1C00 80863C23
	v_mfma_f32_16x16x32_fp8_fp8 v[92:95], a[124:125], v[188:189], v[92:95]// 000000003CD4: D3F3005C 0D73797C
	v_mfma_f32_16x16x32_fp8_fp8 v[92:95], a[126:127], v[190:191], v[92:95]// 000000003CDC: D3F3005C 0D737D7E
	ds_read_b128 v[220:223], v2 offset:9536                    // 000000003CE4: D9FE2540 DC000002
	s_add_u32 s60, 0x200, s80                                  // 000000003CEC: 803C50FF 00000200
	s_cmp_lt_u32 s60, s81                                      // 000000003CF4: BF0A513C
	s_cselect_b32 s57, s57, 0                                  // 000000003CF8: 85398039
	s_add_u32 s60, 0x200, s80                                  // 000000003CFC: 803C50FF 00000200
	s_cmp_lt_u32 s60, s81                                      // 000000003D04: BF0A513C
	s_cselect_b32 s58, s58, 0                                  // 000000003D08: 853A803A
	s_add_u32 s20, s57, s20                                    // 000000003D0C: 80141439
	s_addc_u32 s21, 0, s21                                     // 000000003D10: 82151580
	s_add_u32 s24, s58, s24                                    // 000000003D14: 8018183A
	s_addc_u32 s25, 0, s25                                     // 000000003D18: 82191980
	s_add_u32 s92, s90, s92                                    // 000000003D1C: 805C5C5A
	s_addc_u32 s93, 0, s93                                     // 000000003D20: 825D5D80
	s_addk_i32 s80, 0x100                                      // 000000003D24: B7500100
	s_cmp_lt_i32 s80, s81                                      // 000000003D28: BF045150
	s_cbranch_scc0 label_0555                                  // 000000003D2C: BF840189
	s_waitcnt vmcnt(8) lgkmcnt(0)                              // 000000003D30: BF8C0078
	s_barrier                                                  // 000000003D34: BF8A0000
	v_mfma_f32_16x16x32_fp8_fp8 v[128:131], a[0:1], v[192:193], v[128:131]// 000000003D38: D3F30080 0E038100
	v_mfma_f32_16x16x32_fp8_fp8 v[128:131], a[2:3], v[194:195], v[128:131]// 000000003D40: D3F30080 0E038502
	buffer_load_dwordx4 a[64:67], v32, s[92:95], 0 offen       // 000000003D48: E05C1000 80974020
	v_mfma_f32_16x16x32_fp8_fp8 v[128:131], a[4:5], v[196:197], v[128:131]// 000000003D50: D3F30080 0E038904
	v_mfma_f32_16x16x32_fp8_fp8 v[128:131], a[6:7], v[198:199], v[128:131]// 000000003D58: D3F30080 0E038D06
	buffer_load_dword v24, s[20:23], 0 offen lds               // 000000003D60: E0511000 80050018
	s_add_u32 m0, 0x100, s50                                   // 000000003D68: 807C32FF 00000100
	v_mfma_f32_16x16x32_fp8_fp8 v[128:131], a[8:9], v[200:201], v[128:131]// 000000003D70: D3F30080 0E039108
	v_mfma_f32_16x16x32_fp8_fp8 v[128:131], a[10:11], v[202:203], v[128:131]// 000000003D78: D3F30080 0E03950A
	buffer_load_dwordx4 a[68:71], v32, s[92:95], 0 offen offset:1024// 000000003D80: E05C1400 80974420
	v_mfma_f32_16x16x32_fp8_fp8 v[128:131], a[12:13], v[204:205], v[128:131]// 000000003D88: D3F30080 0E03990C
	v_mfma_f32_16x16x32_fp8_fp8 v[128:131], a[14:15], v[206:207], v[128:131]// 000000003D90: D3F30080 0E039D0E
	buffer_load_dword v25, s[20:23], 0 offen lds               // 000000003D98: E0511000 80050019
	s_add_u32 m0, 0x200, s50                                   // 000000003DA0: 807C32FF 00000200
	v_mfma_f32_16x16x32_fp8_fp8 v[132:135], a[0:1], v[208:209], v[132:135]// 000000003DA8: D3F30084 0E13A100
	v_mfma_f32_16x16x32_fp8_fp8 v[132:135], a[2:3], v[210:211], v[132:135]// 000000003DB0: D3F30084 0E13A502
	buffer_load_dwordx4 a[72:75], v32, s[92:95], 0 offen offset:2048// 000000003DB8: E05C1800 80974820
	v_mfma_f32_16x16x32_fp8_fp8 v[132:135], a[4:5], v[212:213], v[132:135]// 000000003DC0: D3F30084 0E13A904
	v_mfma_f32_16x16x32_fp8_fp8 v[132:135], a[6:7], v[214:215], v[132:135]// 000000003DC8: D3F30084 0E13AD06
	buffer_load_dword v26, s[20:23], 0 offen lds               // 000000003DD0: E0511000 8005001A
	s_add_u32 m0, 0x300, s50                                   // 000000003DD8: 807C32FF 00000300
	v_mfma_f32_16x16x32_fp8_fp8 v[132:135], a[8:9], v[216:217], v[132:135]// 000000003DE0: D3F30084 0E13B108
	v_mfma_f32_16x16x32_fp8_fp8 v[132:135], a[10:11], v[218:219], v[132:135]// 000000003DE8: D3F30084 0E13B50A
	buffer_load_dwordx4 a[76:79], v32, s[92:95], 0 offen offset:3072// 000000003DF0: E05C1C00 80974C20
	v_mfma_f32_16x16x32_fp8_fp8 v[132:135], a[12:13], v[220:221], v[132:135]// 000000003DF8: D3F30084 0E13B90C
	v_mfma_f32_16x16x32_fp8_fp8 v[132:135], a[14:15], v[222:223], v[132:135]// 000000003E00: D3F30084 0E13BD0E
	buffer_load_dword v27, s[20:23], 0 offen lds               // 000000003E08: E0511000 8005001B
	s_add_u32 m0, 0x400, s50                                   // 000000003E10: 807C32FF 00000400
	v_mfma_f32_16x16x32_fp8_fp8 v[136:139], a[16:17], v[192:193], v[136:139]// 000000003E18: D3F30088 0E238110
	v_mfma_f32_16x16x32_fp8_fp8 v[136:139], a[18:19], v[194:195], v[136:139]// 000000003E20: D3F30088 0E238512
	buffer_load_dwordx4 a[80:83], v33, s[92:95], 0 offen       // 000000003E28: E05C1000 80975021
	v_mfma_f32_16x16x32_fp8_fp8 v[136:139], a[20:21], v[196:197], v[136:139]// 000000003E30: D3F30088 0E238914
	v_mfma_f32_16x16x32_fp8_fp8 v[136:139], a[22:23], v[198:199], v[136:139]// 000000003E38: D3F30088 0E238D16
	buffer_load_dword v28, s[20:23], 0 offen lds               // 000000003E40: E0511000 8005001C
	s_add_u32 m0, 0x500, s50                                   // 000000003E48: 807C32FF 00000500
	v_mfma_f32_16x16x32_fp8_fp8 v[136:139], a[24:25], v[200:201], v[136:139]// 000000003E50: D3F30088 0E239118
	v_mfma_f32_16x16x32_fp8_fp8 v[136:139], a[26:27], v[202:203], v[136:139]// 000000003E58: D3F30088 0E23951A
	buffer_load_dwordx4 a[84:87], v33, s[92:95], 0 offen offset:1024// 000000003E60: E05C1400 80975421
	v_mfma_f32_16x16x32_fp8_fp8 v[136:139], a[28:29], v[204:205], v[136:139]// 000000003E68: D3F30088 0E23991C
	v_mfma_f32_16x16x32_fp8_fp8 v[136:139], a[30:31], v[206:207], v[136:139]// 000000003E70: D3F30088 0E239D1E
	buffer_load_dword v29, s[20:23], 0 offen lds               // 000000003E78: E0511000 8005001D
	s_add_u32 m0, 0x600, s50                                   // 000000003E80: 807C32FF 00000600
	v_mfma_f32_16x16x32_fp8_fp8 v[140:143], a[16:17], v[208:209], v[140:143]// 000000003E88: D3F3008C 0E33A110
	v_mfma_f32_16x16x32_fp8_fp8 v[140:143], a[18:19], v[210:211], v[140:143]// 000000003E90: D3F3008C 0E33A512
	buffer_load_dwordx4 a[88:91], v33, s[92:95], 0 offen offset:2048// 000000003E98: E05C1800 80975821
	v_mfma_f32_16x16x32_fp8_fp8 v[140:143], a[20:21], v[212:213], v[140:143]// 000000003EA0: D3F3008C 0E33A914
	v_mfma_f32_16x16x32_fp8_fp8 v[140:143], a[22:23], v[214:215], v[140:143]// 000000003EA8: D3F3008C 0E33AD16
	buffer_load_dword v30, s[20:23], 0 offen lds               // 000000003EB0: E0511000 8005001E
	s_add_u32 m0, 0x700, s50                                   // 000000003EB8: 807C32FF 00000700
	v_mfma_f32_16x16x32_fp8_fp8 v[140:143], a[24:25], v[216:217], v[140:143]// 000000003EC0: D3F3008C 0E33B118
	v_mfma_f32_16x16x32_fp8_fp8 v[140:143], a[26:27], v[218:219], v[140:143]// 000000003EC8: D3F3008C 0E33B51A
	buffer_load_dwordx4 a[92:95], v33, s[92:95], 0 offen offset:3072// 000000003ED0: E05C1C00 80975C21
	v_mfma_f32_16x16x32_fp8_fp8 v[140:143], a[28:29], v[220:221], v[140:143]// 000000003ED8: D3F3008C 0E33B91C
	v_mfma_f32_16x16x32_fp8_fp8 v[140:143], a[30:31], v[222:223], v[140:143]// 000000003EE0: D3F3008C 0E33BD1E
	buffer_load_dword v31, s[20:23], 0 offen lds               // 000000003EE8: E0511000 8005001F
	s_add_u32 m0, 0, s51                                       // 000000003EF0: 807C3380
	s_waitcnt vmcnt(20)                                        // 000000003EF4: BF8C4F74
	v_mfma_f32_16x16x32_fp8_fp8 v[144:147], a[32:33], v[192:193], v[144:147]// 000000003EF8: D3F30090 0E438120
	v_mfma_f32_16x16x32_fp8_fp8 v[144:147], a[34:35], v[194:195], v[144:147]// 000000003F00: D3F30090 0E438522
	buffer_load_dwordx4 a[96:99], v34, s[92:95], 0 offen       // 000000003F08: E05C1000 80976022
	v_mfma_f32_16x16x32_fp8_fp8 v[144:147], a[36:37], v[196:197], v[144:147]// 000000003F10: D3F30090 0E438924
	v_mfma_f32_16x16x32_fp8_fp8 v[144:147], a[38:39], v[198:199], v[144:147]// 000000003F18: D3F30090 0E438D26
	v_mfma_f32_16x16x32_fp8_fp8 v[144:147], a[40:41], v[200:201], v[144:147]// 000000003F20: D3F30090 0E439128
	v_mfma_f32_16x16x32_fp8_fp8 v[144:147], a[42:43], v[202:203], v[144:147]// 000000003F28: D3F30090 0E43952A
	buffer_load_dwordx4 a[100:103], v34, s[92:95], 0 offen offset:1024// 000000003F30: E05C1400 80976422
	v_mfma_f32_16x16x32_fp8_fp8 v[144:147], a[44:45], v[204:205], v[144:147]// 000000003F38: D3F30090 0E43992C
	v_mfma_f32_16x16x32_fp8_fp8 v[144:147], a[46:47], v[206:207], v[144:147]// 000000003F40: D3F30090 0E439D2E
	v_mfma_f32_16x16x32_fp8_fp8 v[148:151], a[32:33], v[208:209], v[148:151]// 000000003F48: D3F30094 0E53A120
	v_mfma_f32_16x16x32_fp8_fp8 v[148:151], a[34:35], v[210:211], v[148:151]// 000000003F50: D3F30094 0E53A522
	buffer_load_dwordx4 a[104:107], v34, s[92:95], 0 offen offset:2048// 000000003F58: E05C1800 80976822
	v_mfma_f32_16x16x32_fp8_fp8 v[148:151], a[36:37], v[212:213], v[148:151]// 000000003F60: D3F30094 0E53A924
	v_mfma_f32_16x16x32_fp8_fp8 v[148:151], a[38:39], v[214:215], v[148:151]// 000000003F68: D3F30094 0E53AD26
	v_mfma_f32_16x16x32_fp8_fp8 v[148:151], a[40:41], v[216:217], v[148:151]// 000000003F70: D3F30094 0E53B128
	v_mfma_f32_16x16x32_fp8_fp8 v[148:151], a[42:43], v[218:219], v[148:151]// 000000003F78: D3F30094 0E53B52A
	buffer_load_dwordx4 a[108:111], v34, s[92:95], 0 offen offset:3072// 000000003F80: E05C1C00 80976C22
	v_mfma_f32_16x16x32_fp8_fp8 v[148:151], a[44:45], v[220:221], v[148:151]// 000000003F88: D3F30094 0E53B92C
	v_mfma_f32_16x16x32_fp8_fp8 v[148:151], a[46:47], v[222:223], v[148:151]// 000000003F90: D3F30094 0E53BD2E
	s_waitcnt vmcnt(20)                                        // 000000003F98: BF8C4F74
	v_mfma_f32_16x16x32_fp8_fp8 v[152:155], a[48:49], v[192:193], v[152:155]// 000000003F9C: D3F30098 0E638130
	v_mfma_f32_16x16x32_fp8_fp8 v[152:155], a[50:51], v[194:195], v[152:155]// 000000003FA4: D3F30098 0E638532
	buffer_load_dwordx4 a[112:115], v35, s[92:95], 0 offen     // 000000003FAC: E05C1000 80977023
	v_mfma_f32_16x16x32_fp8_fp8 v[152:155], a[52:53], v[196:197], v[152:155]// 000000003FB4: D3F30098 0E638934
	v_mfma_f32_16x16x32_fp8_fp8 v[152:155], a[54:55], v[198:199], v[152:155]// 000000003FBC: D3F30098 0E638D36
	v_mfma_f32_16x16x32_fp8_fp8 v[152:155], a[56:57], v[200:201], v[152:155]// 000000003FC4: D3F30098 0E639138
	v_mfma_f32_16x16x32_fp8_fp8 v[152:155], a[58:59], v[202:203], v[152:155]// 000000003FCC: D3F30098 0E63953A
	buffer_load_dwordx4 a[116:119], v35, s[92:95], 0 offen offset:1024// 000000003FD4: E05C1400 80977423
	v_mfma_f32_16x16x32_fp8_fp8 v[152:155], a[60:61], v[204:205], v[152:155]// 000000003FDC: D3F30098 0E63993C
	v_mfma_f32_16x16x32_fp8_fp8 v[152:155], a[62:63], v[206:207], v[152:155]// 000000003FE4: D3F30098 0E639D3E
	v_mfma_f32_16x16x32_fp8_fp8 v[156:159], a[48:49], v[208:209], v[156:159]// 000000003FEC: D3F3009C 0E73A130
	v_mfma_f32_16x16x32_fp8_fp8 v[156:159], a[50:51], v[210:211], v[156:159]// 000000003FF4: D3F3009C 0E73A532
	buffer_load_dwordx4 a[120:123], v35, s[92:95], 0 offen offset:2048// 000000003FFC: E05C1800 80977823
	v_mfma_f32_16x16x32_fp8_fp8 v[156:159], a[52:53], v[212:213], v[156:159]// 000000004004: D3F3009C 0E73A934
	v_mfma_f32_16x16x32_fp8_fp8 v[156:159], a[54:55], v[214:215], v[156:159]// 00000000400C: D3F3009C 0E73AD36
	v_mfma_f32_16x16x32_fp8_fp8 v[156:159], a[56:57], v[216:217], v[156:159]// 000000004014: D3F3009C 0E73B138
	v_mfma_f32_16x16x32_fp8_fp8 v[156:159], a[58:59], v[218:219], v[156:159]// 00000000401C: D3F3009C 0E73B53A
	buffer_load_dwordx4 a[124:127], v35, s[92:95], 0 offen offset:3072// 000000004024: E05C1C00 80977C23
	v_mfma_f32_16x16x32_fp8_fp8 v[156:159], a[60:61], v[220:221], v[156:159]// 00000000402C: D3F3009C 0E73B93C
	v_mfma_f32_16x16x32_fp8_fp8 v[156:159], a[62:63], v[222:223], v[156:159]// 000000004034: D3F3009C 0E73BD3E
	s_waitcnt vmcnt(8)                                         // 00000000403C: BF8C0F78
	s_barrier                                                  // 000000004040: BF8A0000
	v_mfma_f32_16x16x32_fp8_fp8 v[64:67], a[64:65], v[192:193], v[64:67]// 000000004044: D3F30040 0D038140
	v_mfma_f32_16x16x32_fp8_fp8 v[64:67], a[66:67], v[194:195], v[64:67]// 00000000404C: D3F30040 0D038542
	buffer_load_dwordx4 a[0:3], v32, s[24:27], 0 offen         // 000000004054: E05C1000 80860020
	v_mfma_f32_16x16x32_fp8_fp8 v[64:67], a[68:69], v[196:197], v[64:67]// 00000000405C: D3F30040 0D038944
	v_mfma_f32_16x16x32_fp8_fp8 v[64:67], a[70:71], v[198:199], v[64:67]// 000000004064: D3F30040 0D038D46
	v_mfma_f32_16x16x32_fp8_fp8 v[64:67], a[72:73], v[200:201], v[64:67]// 00000000406C: D3F30040 0D039148
	v_mfma_f32_16x16x32_fp8_fp8 v[64:67], a[74:75], v[202:203], v[64:67]// 000000004074: D3F30040 0D03954A
	buffer_load_dwordx4 a[4:7], v32, s[24:27], 0 offen offset:1024// 00000000407C: E05C1400 80860420
	v_mfma_f32_16x16x32_fp8_fp8 v[64:67], a[76:77], v[204:205], v[64:67]// 000000004084: D3F30040 0D03994C
	v_mfma_f32_16x16x32_fp8_fp8 v[64:67], a[78:79], v[206:207], v[64:67]// 00000000408C: D3F30040 0D039D4E
	v_mfma_f32_16x16x32_fp8_fp8 v[68:71], a[64:65], v[208:209], v[68:71]// 000000004094: D3F30044 0D13A140
	v_mfma_f32_16x16x32_fp8_fp8 v[68:71], a[66:67], v[210:211], v[68:71]// 00000000409C: D3F30044 0D13A542
	buffer_load_dwordx4 a[8:11], v32, s[24:27], 0 offen offset:2048// 0000000040A4: E05C1800 80860820
	v_mfma_f32_16x16x32_fp8_fp8 v[68:71], a[68:69], v[212:213], v[68:71]// 0000000040AC: D3F30044 0D13A944
	v_mfma_f32_16x16x32_fp8_fp8 v[68:71], a[70:71], v[214:215], v[68:71]// 0000000040B4: D3F30044 0D13AD46
	v_mfma_f32_16x16x32_fp8_fp8 v[68:71], a[72:73], v[216:217], v[68:71]// 0000000040BC: D3F30044 0D13B148
	v_mfma_f32_16x16x32_fp8_fp8 v[68:71], a[74:75], v[218:219], v[68:71]// 0000000040C4: D3F30044 0D13B54A
	buffer_load_dwordx4 a[12:15], v32, s[24:27], 0 offen offset:3072// 0000000040CC: E05C1C00 80860C20
	v_mfma_f32_16x16x32_fp8_fp8 v[68:71], a[76:77], v[220:221], v[68:71]// 0000000040D4: D3F30044 0D13B94C
	v_mfma_f32_16x16x32_fp8_fp8 v[68:71], a[78:79], v[222:223], v[68:71]// 0000000040DC: D3F30044 0D13BD4E
	v_mfma_f32_16x16x32_fp8_fp8 v[72:75], a[80:81], v[192:193], v[72:75]// 0000000040E4: D3F30048 0D238150
	v_mfma_f32_16x16x32_fp8_fp8 v[72:75], a[82:83], v[194:195], v[72:75]// 0000000040EC: D3F30048 0D238552
	buffer_load_dwordx4 a[16:19], v33, s[24:27], 0 offen       // 0000000040F4: E05C1000 80861021
	v_mfma_f32_16x16x32_fp8_fp8 v[72:75], a[84:85], v[196:197], v[72:75]// 0000000040FC: D3F30048 0D238954
	v_mfma_f32_16x16x32_fp8_fp8 v[72:75], a[86:87], v[198:199], v[72:75]// 000000004104: D3F30048 0D238D56
	v_mfma_f32_16x16x32_fp8_fp8 v[72:75], a[88:89], v[200:201], v[72:75]// 00000000410C: D3F30048 0D239158
	v_mfma_f32_16x16x32_fp8_fp8 v[72:75], a[90:91], v[202:203], v[72:75]// 000000004114: D3F30048 0D23955A
	buffer_load_dwordx4 a[20:23], v33, s[24:27], 0 offen offset:1024// 00000000411C: E05C1400 80861421
	v_mfma_f32_16x16x32_fp8_fp8 v[72:75], a[92:93], v[204:205], v[72:75]// 000000004124: D3F30048 0D23995C
	v_mfma_f32_16x16x32_fp8_fp8 v[72:75], a[94:95], v[206:207], v[72:75]// 00000000412C: D3F30048 0D239D5E
	v_mfma_f32_16x16x32_fp8_fp8 v[76:79], a[80:81], v[208:209], v[76:79]// 000000004134: D3F3004C 0D33A150
	v_mfma_f32_16x16x32_fp8_fp8 v[76:79], a[82:83], v[210:211], v[76:79]// 00000000413C: D3F3004C 0D33A552
	buffer_load_dwordx4 a[24:27], v33, s[24:27], 0 offen offset:2048// 000000004144: E05C1800 80861821
	v_mfma_f32_16x16x32_fp8_fp8 v[76:79], a[84:85], v[212:213], v[76:79]// 00000000414C: D3F3004C 0D33A954
	v_mfma_f32_16x16x32_fp8_fp8 v[76:79], a[86:87], v[214:215], v[76:79]// 000000004154: D3F3004C 0D33AD56
	v_mfma_f32_16x16x32_fp8_fp8 v[76:79], a[88:89], v[216:217], v[76:79]// 00000000415C: D3F3004C 0D33B158
	v_mfma_f32_16x16x32_fp8_fp8 v[76:79], a[90:91], v[218:219], v[76:79]// 000000004164: D3F3004C 0D33B55A
	buffer_load_dwordx4 a[28:31], v33, s[24:27], 0 offen offset:3072// 00000000416C: E05C1C00 80861C21
	v_mfma_f32_16x16x32_fp8_fp8 v[76:79], a[92:93], v[220:221], v[76:79]// 000000004174: D3F3004C 0D33B95C
	v_mfma_f32_16x16x32_fp8_fp8 v[76:79], a[94:95], v[222:223], v[76:79]// 00000000417C: D3F3004C 0D33BD5E
	s_waitcnt vmcnt(12)                                        // 000000004184: BF8C0F7C
	v_mfma_f32_16x16x32_fp8_fp8 v[80:83], a[96:97], v[192:193], v[80:83]// 000000004188: D3F30050 0D438160
	v_mfma_f32_16x16x32_fp8_fp8 v[80:83], a[98:99], v[194:195], v[80:83]// 000000004190: D3F30050 0D438562
	buffer_load_dwordx4 a[32:35], v34, s[24:27], 0 offen       // 000000004198: E05C1000 80862022
	v_mfma_f32_16x16x32_fp8_fp8 v[80:83], a[100:101], v[196:197], v[80:83]// 0000000041A0: D3F30050 0D438964
	v_mfma_f32_16x16x32_fp8_fp8 v[80:83], a[102:103], v[198:199], v[80:83]// 0000000041A8: D3F30050 0D438D66
	ds_read_b128 v[160:163], v2                                // 0000000041B0: D9FE0000 A0000002
	v_mfma_f32_16x16x32_fp8_fp8 v[80:83], a[104:105], v[200:201], v[80:83]// 0000000041B8: D3F30050 0D439168
	v_mfma_f32_16x16x32_fp8_fp8 v[80:83], a[106:107], v[202:203], v[80:83]// 0000000041C0: D3F30050 0D43956A
	buffer_load_dwordx4 a[36:39], v34, s[24:27], 0 offen offset:1024// 0000000041C8: E05C1400 80862422
	v_mfma_f32_16x16x32_fp8_fp8 v[80:83], a[108:109], v[204:205], v[80:83]// 0000000041D0: D3F30050 0D43996C
	v_mfma_f32_16x16x32_fp8_fp8 v[80:83], a[110:111], v[206:207], v[80:83]// 0000000041D8: D3F30050 0D439D6E
	ds_read_b128 v[164:167], v2 offset:64                      // 0000000041E0: D9FE0040 A4000002
	v_mfma_f32_16x16x32_fp8_fp8 v[84:87], a[96:97], v[208:209], v[84:87]// 0000000041E8: D3F30054 0D53A160
	v_mfma_f32_16x16x32_fp8_fp8 v[84:87], a[98:99], v[210:211], v[84:87]// 0000000041F0: D3F30054 0D53A562
	buffer_load_dwordx4 a[40:43], v34, s[24:27], 0 offen offset:2048// 0000000041F8: E05C1800 80862822
	v_mfma_f32_16x16x32_fp8_fp8 v[84:87], a[100:101], v[212:213], v[84:87]// 000000004200: D3F30054 0D53A964
	v_mfma_f32_16x16x32_fp8_fp8 v[84:87], a[102:103], v[214:215], v[84:87]// 000000004208: D3F30054 0D53AD66
	ds_read_b128 v[168:171], v2 offset:128                     // 000000004210: D9FE0080 A8000002
	v_mfma_f32_16x16x32_fp8_fp8 v[84:87], a[104:105], v[216:217], v[84:87]// 000000004218: D3F30054 0D53B168
	v_mfma_f32_16x16x32_fp8_fp8 v[84:87], a[106:107], v[218:219], v[84:87]// 000000004220: D3F30054 0D53B56A
	buffer_load_dwordx4 a[44:47], v34, s[24:27], 0 offen offset:3072// 000000004228: E05C1C00 80862C22
	v_mfma_f32_16x16x32_fp8_fp8 v[84:87], a[108:109], v[220:221], v[84:87]// 000000004230: D3F30054 0D53B96C
	v_mfma_f32_16x16x32_fp8_fp8 v[84:87], a[110:111], v[222:223], v[84:87]// 000000004238: D3F30054 0D53BD6E
	ds_read_b128 v[172:175], v2 offset:192                     // 000000004240: D9FE00C0 AC000002
	s_waitcnt vmcnt(12)                                        // 000000004248: BF8C0F7C
	v_mfma_f32_16x16x32_fp8_fp8 v[88:91], a[112:113], v[192:193], v[88:91]// 00000000424C: D3F30058 0D638170
	v_mfma_f32_16x16x32_fp8_fp8 v[88:91], a[114:115], v[194:195], v[88:91]// 000000004254: D3F30058 0D638572
	buffer_load_dwordx4 a[48:51], v35, s[24:27], 0 offen       // 00000000425C: E05C1000 80863023
	v_mfma_f32_16x16x32_fp8_fp8 v[88:91], a[116:117], v[196:197], v[88:91]// 000000004264: D3F30058 0D638974
	v_mfma_f32_16x16x32_fp8_fp8 v[88:91], a[118:119], v[198:199], v[88:91]// 00000000426C: D3F30058 0D638D76
	ds_read_b128 v[176:179], v2 offset:1024                    // 000000004274: D9FE0400 B0000002
	v_mfma_f32_16x16x32_fp8_fp8 v[88:91], a[120:121], v[200:201], v[88:91]// 00000000427C: D3F30058 0D639178
	v_mfma_f32_16x16x32_fp8_fp8 v[88:91], a[122:123], v[202:203], v[88:91]// 000000004284: D3F30058 0D63957A
	buffer_load_dwordx4 a[52:55], v35, s[24:27], 0 offen offset:1024// 00000000428C: E05C1400 80863423
	v_mfma_f32_16x16x32_fp8_fp8 v[88:91], a[124:125], v[204:205], v[88:91]// 000000004294: D3F30058 0D63997C
	v_mfma_f32_16x16x32_fp8_fp8 v[88:91], a[126:127], v[206:207], v[88:91]// 00000000429C: D3F30058 0D639D7E
	ds_read_b128 v[180:183], v2 offset:1088                    // 0000000042A4: D9FE0440 B4000002
	v_mfma_f32_16x16x32_fp8_fp8 v[92:95], a[112:113], v[208:209], v[92:95]// 0000000042AC: D3F3005C 0D73A170
	v_mfma_f32_16x16x32_fp8_fp8 v[92:95], a[114:115], v[210:211], v[92:95]// 0000000042B4: D3F3005C 0D73A572
	buffer_load_dwordx4 a[56:59], v35, s[24:27], 0 offen offset:2048// 0000000042BC: E05C1800 80863823
	v_mfma_f32_16x16x32_fp8_fp8 v[92:95], a[116:117], v[212:213], v[92:95]// 0000000042C4: D3F3005C 0D73A974
	v_mfma_f32_16x16x32_fp8_fp8 v[92:95], a[118:119], v[214:215], v[92:95]// 0000000042CC: D3F3005C 0D73AD76
	ds_read_b128 v[184:187], v2 offset:1152                    // 0000000042D4: D9FE0480 B8000002
	v_mfma_f32_16x16x32_fp8_fp8 v[92:95], a[120:121], v[216:217], v[92:95]// 0000000042DC: D3F3005C 0D73B178
	v_mfma_f32_16x16x32_fp8_fp8 v[92:95], a[122:123], v[218:219], v[92:95]// 0000000042E4: D3F3005C 0D73B57A
	buffer_load_dwordx4 a[60:63], v35, s[24:27], 0 offen offset:3072// 0000000042EC: E05C1C00 80863C23
	v_mfma_f32_16x16x32_fp8_fp8 v[92:95], a[124:125], v[220:221], v[92:95]// 0000000042F4: D3F3005C 0D73B97C
	v_mfma_f32_16x16x32_fp8_fp8 v[92:95], a[126:127], v[222:223], v[92:95]// 0000000042FC: D3F3005C 0D73BD7E
	ds_read_b128 v[188:191], v2 offset:1216                    // 000000004304: D9FE04C0 BC000002
	s_add_u32 s60, 0x200, s80                                  // 00000000430C: 803C50FF 00000200
	s_cmp_lt_u32 s60, s81                                      // 000000004314: BF0A513C
	s_cselect_b32 s57, s57, 0                                  // 000000004318: 85398039
	s_add_u32 s60, 0x200, s80                                  // 00000000431C: 803C50FF 00000200
	s_cmp_lt_u32 s60, s81                                      // 000000004324: BF0A513C
	s_cselect_b32 s58, s58, 0                                  // 000000004328: 853A803A
	s_add_u32 s20, s57, s20                                    // 00000000432C: 80141439
	s_addc_u32 s21, 0, s21                                     // 000000004330: 82151580
	s_add_u32 s24, s58, s24                                    // 000000004334: 8018183A
	s_addc_u32 s25, 0, s25                                     // 000000004338: 82191980
	s_add_u32 s92, s90, s92                                    // 00000000433C: 805C5C5A
	s_addc_u32 s93, 0, s93                                     // 000000004340: 825D5D80
	s_addk_i32 s80, 0x100                                      // 000000004344: B7500100
	s_cmp_lt_i32 s80, s81                                      // 000000004348: BF045150
	s_cbranch_scc0 label_0555                                  // 00000000434C: BF840001
	s_branch label_0244                                        // 000000004350: BF82FCEF

0000000000004354 <label_0555>:
	s_mov_b32 s36, -1                                          // 000000004354: BEA400C1
	s_mov_b32 s37, -1                                          // 000000004358: BEA500C1
	s_mov_b64 s[60:61], 0                                      // 00000000435C: BEBC0180
	s_cmp_lt_u32 s82, s66                                      // 000000004360: BF0A4252
	s_cselect_b64 s[20:21], s[36:37], s[60:61]                 // 000000004364: 85943C24
	s_cmp_lt_u32 s83, s66                                      // 000000004368: BF0A4253
	s_cselect_b64 s[22:23], s[36:37], s[60:61]                 // 00000000436C: 85963C24
	s_cmp_lt_u32 s84, s66                                      // 000000004370: BF0A4254
	s_cselect_b64 s[24:25], s[36:37], s[60:61]                 // 000000004374: 85983C24
	s_cmp_lt_u32 s85, s66                                      // 000000004378: BF0A4255
	s_cselect_b64 s[26:27], s[36:37], s[60:61]                 // 00000000437C: 859A3C24
	s_cmp_lt_u32 s86, s66                                      // 000000004380: BF0A4256
	s_cselect_b64 s[28:29], s[36:37], s[60:61]                 // 000000004384: 859C3C24
	s_cmp_lt_u32 s87, s66                                      // 000000004388: BF0A4257
	s_cselect_b64 s[30:31], s[36:37], s[60:61]                 // 00000000438C: 859E3C24
	s_cmp_lt_u32 s88, s66                                      // 000000004390: BF0A4258
	s_cselect_b64 s[32:33], s[36:37], s[60:61]                 // 000000004394: 85A03C24
	s_cmp_lt_u32 s89, s66                                      // 000000004398: BF0A4259
	s_cselect_b64 s[34:35], s[36:37], s[60:61]                 // 00000000439C: 85A23C24
	v_mul_f32_e32 v128, v13, v128                              // 0000000043A0: 0B01010D
	v_mul_f32_e32 v128, v17, v128                              // 0000000043A4: 0B010111
	v_mul_f32_e32 v129, v13, v129                              // 0000000043A8: 0B03030D
	v_mul_f32_e32 v129, v17, v129                              // 0000000043AC: 0B030311
	v_mul_f32_e32 v130, v13, v130                              // 0000000043B0: 0B05050D
	v_mul_f32_e32 v130, v17, v130                              // 0000000043B4: 0B050511
	v_mul_f32_e32 v131, v13, v131                              // 0000000043B8: 0B07070D
	v_mul_f32_e32 v131, v17, v131                              // 0000000043BC: 0B070711
	v_mul_f32_dpp v128, v15, v128 row_newbcast:0 row_mask:0xf bank_mask:0xf// 0000000043C0: 0B0100FA FF01500F
	v_mul_f32_dpp v129, v15, v129 row_newbcast:1 row_mask:0xf bank_mask:0xf// 0000000043C8: 0B0302FA FF01510F
	v_mul_f32_dpp v130, v15, v130 row_newbcast:2 row_mask:0xf bank_mask:0xf// 0000000043D0: 0B0504FA FF01520F
	v_mul_f32_dpp v131, v15, v131 row_newbcast:3 row_mask:0xf bank_mask:0xf// 0000000043D8: 0B0706FA FF01530F
	v_mul_f32_e32 v132, v14, v132                              // 0000000043E0: 0B09090E
	v_mul_f32_e32 v132, v18, v132                              // 0000000043E4: 0B090912
	v_mul_f32_e32 v133, v14, v133                              // 0000000043E8: 0B0B0B0E
	v_mul_f32_e32 v133, v18, v133                              // 0000000043EC: 0B0B0B12
	v_mul_f32_e32 v134, v14, v134                              // 0000000043F0: 0B0D0D0E
	v_mul_f32_e32 v134, v18, v134                              // 0000000043F4: 0B0D0D12
	v_mul_f32_e32 v135, v14, v135                              // 0000000043F8: 0B0F0F0E
	v_mul_f32_e32 v135, v18, v135                              // 0000000043FC: 0B0F0F12
	v_mul_f32_dpp v132, v15, v132 row_newbcast:0 row_mask:0xf bank_mask:0xf// 000000004400: 0B0908FA FF01500F
	v_mul_f32_dpp v133, v15, v133 row_newbcast:1 row_mask:0xf bank_mask:0xf// 000000004408: 0B0B0AFA FF01510F
	v_mul_f32_dpp v134, v15, v134 row_newbcast:2 row_mask:0xf bank_mask:0xf// 000000004410: 0B0D0CFA FF01520F
	v_mul_f32_dpp v135, v15, v135 row_newbcast:3 row_mask:0xf bank_mask:0xf// 000000004418: 0B0F0EFA FF01530F
	v_mul_f32_e32 v136, v13, v136                              // 000000004420: 0B11110D
	v_mul_f32_e32 v136, v17, v136                              // 000000004424: 0B111111
	v_mul_f32_e32 v137, v13, v137                              // 000000004428: 0B13130D
	v_mul_f32_e32 v137, v17, v137                              // 00000000442C: 0B131311
	v_mul_f32_e32 v138, v13, v138                              // 000000004430: 0B15150D
	v_mul_f32_e32 v138, v17, v138                              // 000000004434: 0B151511
	v_mul_f32_e32 v139, v13, v139                              // 000000004438: 0B17170D
	v_mul_f32_e32 v139, v17, v139                              // 00000000443C: 0B171711
	v_mul_f32_dpp v136, v15, v136 row_newbcast:4 row_mask:0xf bank_mask:0xf// 000000004440: 0B1110FA FF01540F
	v_mul_f32_dpp v137, v15, v137 row_newbcast:5 row_mask:0xf bank_mask:0xf// 000000004448: 0B1312FA FF01550F
	v_mul_f32_dpp v138, v15, v138 row_newbcast:6 row_mask:0xf bank_mask:0xf// 000000004450: 0B1514FA FF01560F
	v_mul_f32_dpp v139, v15, v139 row_newbcast:7 row_mask:0xf bank_mask:0xf// 000000004458: 0B1716FA FF01570F
	v_mul_f32_e32 v140, v14, v140                              // 000000004460: 0B19190E
	v_mul_f32_e32 v140, v18, v140                              // 000000004464: 0B191912
	v_mul_f32_e32 v141, v14, v141                              // 000000004468: 0B1B1B0E
	v_mul_f32_e32 v141, v18, v141                              // 00000000446C: 0B1B1B12
	v_mul_f32_e32 v142, v14, v142                              // 000000004470: 0B1D1D0E
	v_mul_f32_e32 v142, v18, v142                              // 000000004474: 0B1D1D12
	v_mul_f32_e32 v143, v14, v143                              // 000000004478: 0B1F1F0E
	v_mul_f32_e32 v143, v18, v143                              // 00000000447C: 0B1F1F12
	v_mul_f32_dpp v140, v15, v140 row_newbcast:4 row_mask:0xf bank_mask:0xf// 000000004480: 0B1918FA FF01540F
	v_mul_f32_dpp v141, v15, v141 row_newbcast:5 row_mask:0xf bank_mask:0xf// 000000004488: 0B1B1AFA FF01550F
	v_mul_f32_dpp v142, v15, v142 row_newbcast:6 row_mask:0xf bank_mask:0xf// 000000004490: 0B1D1CFA FF01560F
	v_mul_f32_dpp v143, v15, v143 row_newbcast:7 row_mask:0xf bank_mask:0xf// 000000004498: 0B1F1EFA FF01570F
	v_mul_f32_e32 v144, v13, v144                              // 0000000044A0: 0B21210D
	v_mul_f32_e32 v144, v17, v144                              // 0000000044A4: 0B212111
	v_mul_f32_e32 v145, v13, v145                              // 0000000044A8: 0B23230D
	v_mul_f32_e32 v145, v17, v145                              // 0000000044AC: 0B232311
	v_mul_f32_e32 v146, v13, v146                              // 0000000044B0: 0B25250D
	v_mul_f32_e32 v146, v17, v146                              // 0000000044B4: 0B252511
	v_mul_f32_e32 v147, v13, v147                              // 0000000044B8: 0B27270D
	v_mul_f32_e32 v147, v17, v147                              // 0000000044BC: 0B272711
	v_mul_f32_dpp v144, v15, v144 row_newbcast:8 row_mask:0xf bank_mask:0xf// 0000000044C0: 0B2120FA FF01580F
	v_mul_f32_dpp v145, v15, v145 row_newbcast:9 row_mask:0xf bank_mask:0xf// 0000000044C8: 0B2322FA FF01590F
	v_mul_f32_dpp v146, v15, v146 row_newbcast:10 row_mask:0xf bank_mask:0xf// 0000000044D0: 0B2524FA FF015A0F
	v_mul_f32_dpp v147, v15, v147 row_newbcast:11 row_mask:0xf bank_mask:0xf// 0000000044D8: 0B2726FA FF015B0F
	v_mul_f32_e32 v148, v14, v148                              // 0000000044E0: 0B29290E
	v_mul_f32_e32 v148, v18, v148                              // 0000000044E4: 0B292912
	v_mul_f32_e32 v149, v14, v149                              // 0000000044E8: 0B2B2B0E
	v_mul_f32_e32 v149, v18, v149                              // 0000000044EC: 0B2B2B12
	v_mul_f32_e32 v150, v14, v150                              // 0000000044F0: 0B2D2D0E
	v_mul_f32_e32 v150, v18, v150                              // 0000000044F4: 0B2D2D12
	v_mul_f32_e32 v151, v14, v151                              // 0000000044F8: 0B2F2F0E
	v_mul_f32_e32 v151, v18, v151                              // 0000000044FC: 0B2F2F12
	v_mul_f32_dpp v148, v15, v148 row_newbcast:8 row_mask:0xf bank_mask:0xf// 000000004500: 0B2928FA FF01580F
	v_mul_f32_dpp v149, v15, v149 row_newbcast:9 row_mask:0xf bank_mask:0xf// 000000004508: 0B2B2AFA FF01590F
	v_mul_f32_dpp v150, v15, v150 row_newbcast:10 row_mask:0xf bank_mask:0xf// 000000004510: 0B2D2CFA FF015A0F
	v_mul_f32_dpp v151, v15, v151 row_newbcast:11 row_mask:0xf bank_mask:0xf// 000000004518: 0B2F2EFA FF015B0F
	v_mul_f32_e32 v152, v13, v152                              // 000000004520: 0B31310D
	v_mul_f32_e32 v152, v17, v152                              // 000000004524: 0B313111
	v_mul_f32_e32 v153, v13, v153                              // 000000004528: 0B33330D
	v_mul_f32_e32 v153, v17, v153                              // 00000000452C: 0B333311
	v_mul_f32_e32 v154, v13, v154                              // 000000004530: 0B35350D
	v_mul_f32_e32 v154, v17, v154                              // 000000004534: 0B353511
	v_mul_f32_e32 v155, v13, v155                              // 000000004538: 0B37370D
	v_mul_f32_e32 v155, v17, v155                              // 00000000453C: 0B373711
	v_mul_f32_dpp v152, v15, v152 row_newbcast:12 row_mask:0xf bank_mask:0xf// 000000004540: 0B3130FA FF015C0F
	v_mul_f32_dpp v153, v15, v153 row_newbcast:13 row_mask:0xf bank_mask:0xf// 000000004548: 0B3332FA FF015D0F
	v_mul_f32_dpp v154, v15, v154 row_newbcast:14 row_mask:0xf bank_mask:0xf// 000000004550: 0B3534FA FF015E0F
	v_mul_f32_dpp v155, v15, v155 row_newbcast:15 row_mask:0xf bank_mask:0xf// 000000004558: 0B3736FA FF015F0F
	v_mul_f32_e32 v156, v14, v156                              // 000000004560: 0B39390E
	v_mul_f32_e32 v156, v18, v156                              // 000000004564: 0B393912
	v_mul_f32_e32 v157, v14, v157                              // 000000004568: 0B3B3B0E
	v_mul_f32_e32 v157, v18, v157                              // 00000000456C: 0B3B3B12
	v_mul_f32_e32 v158, v14, v158                              // 000000004570: 0B3D3D0E
	v_mul_f32_e32 v158, v18, v158                              // 000000004574: 0B3D3D12
	v_mul_f32_e32 v159, v14, v159                              // 000000004578: 0B3F3F0E
	v_mul_f32_e32 v159, v18, v159                              // 00000000457C: 0B3F3F12
	v_mul_f32_dpp v156, v15, v156 row_newbcast:12 row_mask:0xf bank_mask:0xf// 000000004580: 0B3938FA FF015C0F
	v_mul_f32_dpp v157, v15, v157 row_newbcast:13 row_mask:0xf bank_mask:0xf// 000000004588: 0B3B3AFA FF015D0F
	v_mul_f32_dpp v158, v15, v158 row_newbcast:14 row_mask:0xf bank_mask:0xf// 000000004590: 0B3D3CFA FF015E0F
	v_mul_f32_dpp v159, v15, v159 row_newbcast:15 row_mask:0xf bank_mask:0xf// 000000004598: 0B3F3EFA FF015F0F
	v_mul_f32_e32 v64, v13, v64                                // 0000000045A0: 0A80810D
	v_mul_f32_e32 v64, v17, v64                                // 0000000045A4: 0A808111
	v_mul_f32_e32 v65, v13, v65                                // 0000000045A8: 0A82830D
	v_mul_f32_e32 v65, v17, v65                                // 0000000045AC: 0A828311
	v_mul_f32_e32 v66, v13, v66                                // 0000000045B0: 0A84850D
	v_mul_f32_e32 v66, v17, v66                                // 0000000045B4: 0A848511
	v_mul_f32_e32 v67, v13, v67                                // 0000000045B8: 0A86870D
	v_mul_f32_e32 v67, v17, v67                                // 0000000045BC: 0A868711
	v_mul_f32_dpp v64, v44, v64 row_newbcast:0 row_mask:0xf bank_mask:0xf// 0000000045C0: 0A8080FA FF01502C
	v_mul_f32_dpp v65, v44, v65 row_newbcast:1 row_mask:0xf bank_mask:0xf// 0000000045C8: 0A8282FA FF01512C
	v_mul_f32_dpp v66, v44, v66 row_newbcast:2 row_mask:0xf bank_mask:0xf// 0000000045D0: 0A8484FA FF01522C
	v_mul_f32_dpp v67, v44, v67 row_newbcast:3 row_mask:0xf bank_mask:0xf// 0000000045D8: 0A8686FA FF01532C
	v_mul_f32_e32 v68, v14, v68                                // 0000000045E0: 0A88890E
	v_mul_f32_e32 v68, v18, v68                                // 0000000045E4: 0A888912
	v_mul_f32_e32 v69, v14, v69                                // 0000000045E8: 0A8A8B0E
	v_mul_f32_e32 v69, v18, v69                                // 0000000045EC: 0A8A8B12
	v_mul_f32_e32 v70, v14, v70                                // 0000000045F0: 0A8C8D0E
	v_mul_f32_e32 v70, v18, v70                                // 0000000045F4: 0A8C8D12
	v_mul_f32_e32 v71, v14, v71                                // 0000000045F8: 0A8E8F0E
	v_mul_f32_e32 v71, v18, v71                                // 0000000045FC: 0A8E8F12
	v_mul_f32_dpp v68, v44, v68 row_newbcast:0 row_mask:0xf bank_mask:0xf// 000000004600: 0A8888FA FF01502C
	v_mul_f32_dpp v69, v44, v69 row_newbcast:1 row_mask:0xf bank_mask:0xf// 000000004608: 0A8A8AFA FF01512C
	v_mul_f32_dpp v70, v44, v70 row_newbcast:2 row_mask:0xf bank_mask:0xf// 000000004610: 0A8C8CFA FF01522C
	v_mul_f32_dpp v71, v44, v71 row_newbcast:3 row_mask:0xf bank_mask:0xf// 000000004618: 0A8E8EFA FF01532C
	v_mul_f32_e32 v72, v13, v72                                // 000000004620: 0A90910D
	v_mul_f32_e32 v72, v17, v72                                // 000000004624: 0A909111
	v_mul_f32_e32 v73, v13, v73                                // 000000004628: 0A92930D
	v_mul_f32_e32 v73, v17, v73                                // 00000000462C: 0A929311
	v_mul_f32_e32 v74, v13, v74                                // 000000004630: 0A94950D
	v_mul_f32_e32 v74, v17, v74                                // 000000004634: 0A949511
	v_mul_f32_e32 v75, v13, v75                                // 000000004638: 0A96970D
	v_mul_f32_e32 v75, v17, v75                                // 00000000463C: 0A969711
	v_mul_f32_dpp v72, v44, v72 row_newbcast:4 row_mask:0xf bank_mask:0xf// 000000004640: 0A9090FA FF01542C
	v_mul_f32_dpp v73, v44, v73 row_newbcast:5 row_mask:0xf bank_mask:0xf// 000000004648: 0A9292FA FF01552C
	v_mul_f32_dpp v74, v44, v74 row_newbcast:6 row_mask:0xf bank_mask:0xf// 000000004650: 0A9494FA FF01562C
	v_mul_f32_dpp v75, v44, v75 row_newbcast:7 row_mask:0xf bank_mask:0xf// 000000004658: 0A9696FA FF01572C
	v_mul_f32_e32 v76, v14, v76                                // 000000004660: 0A98990E
	v_mul_f32_e32 v76, v18, v76                                // 000000004664: 0A989912
	v_mul_f32_e32 v77, v14, v77                                // 000000004668: 0A9A9B0E
	v_mul_f32_e32 v77, v18, v77                                // 00000000466C: 0A9A9B12
	v_mul_f32_e32 v78, v14, v78                                // 000000004670: 0A9C9D0E
	v_mul_f32_e32 v78, v18, v78                                // 000000004674: 0A9C9D12
	v_mul_f32_e32 v79, v14, v79                                // 000000004678: 0A9E9F0E
	v_mul_f32_e32 v79, v18, v79                                // 00000000467C: 0A9E9F12
	v_mul_f32_dpp v76, v44, v76 row_newbcast:4 row_mask:0xf bank_mask:0xf// 000000004680: 0A9898FA FF01542C
	v_mul_f32_dpp v77, v44, v77 row_newbcast:5 row_mask:0xf bank_mask:0xf// 000000004688: 0A9A9AFA FF01552C
	v_mul_f32_dpp v78, v44, v78 row_newbcast:6 row_mask:0xf bank_mask:0xf// 000000004690: 0A9C9CFA FF01562C
	v_mul_f32_dpp v79, v44, v79 row_newbcast:7 row_mask:0xf bank_mask:0xf// 000000004698: 0A9E9EFA FF01572C
	v_mul_f32_e32 v80, v13, v80                                // 0000000046A0: 0AA0A10D
	v_mul_f32_e32 v80, v17, v80                                // 0000000046A4: 0AA0A111
	v_mul_f32_e32 v81, v13, v81                                // 0000000046A8: 0AA2A30D
	v_mul_f32_e32 v81, v17, v81                                // 0000000046AC: 0AA2A311
	v_mul_f32_e32 v82, v13, v82                                // 0000000046B0: 0AA4A50D
	v_mul_f32_e32 v82, v17, v82                                // 0000000046B4: 0AA4A511
	v_mul_f32_e32 v83, v13, v83                                // 0000000046B8: 0AA6A70D
	v_mul_f32_e32 v83, v17, v83                                // 0000000046BC: 0AA6A711
	v_mul_f32_dpp v80, v44, v80 row_newbcast:8 row_mask:0xf bank_mask:0xf// 0000000046C0: 0AA0A0FA FF01582C
	v_mul_f32_dpp v81, v44, v81 row_newbcast:9 row_mask:0xf bank_mask:0xf// 0000000046C8: 0AA2A2FA FF01592C
	v_mul_f32_dpp v82, v44, v82 row_newbcast:10 row_mask:0xf bank_mask:0xf// 0000000046D0: 0AA4A4FA FF015A2C
	v_mul_f32_dpp v83, v44, v83 row_newbcast:11 row_mask:0xf bank_mask:0xf// 0000000046D8: 0AA6A6FA FF015B2C
	v_mul_f32_e32 v84, v14, v84                                // 0000000046E0: 0AA8A90E
	v_mul_f32_e32 v84, v18, v84                                // 0000000046E4: 0AA8A912
	v_mul_f32_e32 v85, v14, v85                                // 0000000046E8: 0AAAAB0E
	v_mul_f32_e32 v85, v18, v85                                // 0000000046EC: 0AAAAB12
	v_mul_f32_e32 v86, v14, v86                                // 0000000046F0: 0AACAD0E
	v_mul_f32_e32 v86, v18, v86                                // 0000000046F4: 0AACAD12
	v_mul_f32_e32 v87, v14, v87                                // 0000000046F8: 0AAEAF0E
	v_mul_f32_e32 v87, v18, v87                                // 0000000046FC: 0AAEAF12
	v_mul_f32_dpp v84, v44, v84 row_newbcast:8 row_mask:0xf bank_mask:0xf// 000000004700: 0AA8A8FA FF01582C
	v_mul_f32_dpp v85, v44, v85 row_newbcast:9 row_mask:0xf bank_mask:0xf// 000000004708: 0AAAAAFA FF01592C
	v_mul_f32_dpp v86, v44, v86 row_newbcast:10 row_mask:0xf bank_mask:0xf// 000000004710: 0AACACFA FF015A2C
	v_mul_f32_dpp v87, v44, v87 row_newbcast:11 row_mask:0xf bank_mask:0xf// 000000004718: 0AAEAEFA FF015B2C
	v_mul_f32_e32 v88, v13, v88                                // 000000004720: 0AB0B10D
	v_mul_f32_e32 v88, v17, v88                                // 000000004724: 0AB0B111
	v_mul_f32_e32 v89, v13, v89                                // 000000004728: 0AB2B30D
	v_mul_f32_e32 v89, v17, v89                                // 00000000472C: 0AB2B311
	v_mul_f32_e32 v90, v13, v90                                // 000000004730: 0AB4B50D
	v_mul_f32_e32 v90, v17, v90                                // 000000004734: 0AB4B511
	v_mul_f32_e32 v91, v13, v91                                // 000000004738: 0AB6B70D
	v_mul_f32_e32 v91, v17, v91                                // 00000000473C: 0AB6B711
	v_mul_f32_dpp v88, v44, v88 row_newbcast:12 row_mask:0xf bank_mask:0xf// 000000004740: 0AB0B0FA FF015C2C
	v_mul_f32_dpp v89, v44, v89 row_newbcast:13 row_mask:0xf bank_mask:0xf// 000000004748: 0AB2B2FA FF015D2C
	v_mul_f32_dpp v90, v44, v90 row_newbcast:14 row_mask:0xf bank_mask:0xf// 000000004750: 0AB4B4FA FF015E2C
	v_mul_f32_dpp v91, v44, v91 row_newbcast:15 row_mask:0xf bank_mask:0xf// 000000004758: 0AB6B6FA FF015F2C
	v_mul_f32_e32 v92, v14, v92                                // 000000004760: 0AB8B90E
	v_mul_f32_e32 v92, v18, v92                                // 000000004764: 0AB8B912
	v_mul_f32_e32 v93, v14, v93                                // 000000004768: 0ABABB0E
	v_mul_f32_e32 v93, v18, v93                                // 00000000476C: 0ABABB12
	v_mul_f32_e32 v94, v14, v94                                // 000000004770: 0ABCBD0E
	v_mul_f32_e32 v94, v18, v94                                // 000000004774: 0ABCBD12
	v_mul_f32_e32 v95, v14, v95                                // 000000004778: 0ABEBF0E
	v_mul_f32_e32 v95, v18, v95                                // 00000000477C: 0ABEBF12
	v_mul_f32_dpp v92, v44, v92 row_newbcast:12 row_mask:0xf bank_mask:0xf// 000000004780: 0AB8B8FA FF015C2C
	v_mul_f32_dpp v93, v44, v93 row_newbcast:13 row_mask:0xf bank_mask:0xf// 000000004788: 0ABABAFA FF015D2C
	v_mul_f32_dpp v94, v44, v94 row_newbcast:14 row_mask:0xf bank_mask:0xf// 000000004790: 0ABCBCFA FF015E2C
	v_mul_f32_dpp v95, v44, v95 row_newbcast:15 row_mask:0xf bank_mask:0xf// 000000004798: 0ABEBEFA FF015F2C
	s_waitcnt vmcnt(12)                                        // 0000000047A0: BF8C0F7C
	buffer_load_dwordx4 a[0:3], v36, s[12:15], 0 offen         // 0000000047A4: E05C1000 80830024
	v_mul_f32_e64 v46, -v128, s6                               // 0000000047AC: D105002E 20000D80
	v_mul_f32_e64 v47, -v129, s6                               // 0000000047B4: D105002F 20000D81
	v_mul_f32_e64 v48, -v130, s6                               // 0000000047BC: D1050030 20000D82
	v_mul_f32_e64 v49, -v131, s6                               // 0000000047C4: D1050031 20000D83
	v_exp_f32_e32 v46, v46                                     // 0000000047CC: 7E5C412E
	v_exp_f32_e32 v47, v47                                     // 0000000047D0: 7E5E412F
	v_exp_f32_e32 v48, v48                                     // 0000000047D4: 7E604130
	v_exp_f32_e32 v49, v49                                     // 0000000047D8: 7E624131
	buffer_load_dwordx4 a[4:7], v37, s[12:15], 0 offen         // 0000000047DC: E05C1000 80830425
	v_add_f32_e64 v46, v46, 1.0                                // 0000000047E4: D101002E 0001E52E
	v_add_f32_e64 v47, v47, 1.0                                // 0000000047EC: D101002F 0001E52F
	v_add_f32_e64 v48, v48, 1.0                                // 0000000047F4: D1010030 0001E530
	v_add_f32_e64 v49, v49, 1.0                                // 0000000047FC: D1010031 0001E531
	v_rcp_f32_e32 v46, v46                                     // 000000004804: 7E5C452E
	v_rcp_f32_e32 v47, v47                                     // 000000004808: 7E5E452F
	v_rcp_f32_e32 v48, v48                                     // 00000000480C: 7E604530
	v_rcp_f32_e32 v49, v49                                     // 000000004810: 7E624531
	v_mul_f32_e32 v128, v128, v46                              // 000000004814: 0B005D80
	v_mul_f32_e32 v129, v129, v47                              // 000000004818: 0B025F81
	v_mul_f32_e32 v130, v130, v48                              // 00000000481C: 0B046182
	v_mul_f32_e32 v131, v131, v49                              // 000000004820: 0B066383
	v_mul_f32_e32 v128, v128, v64                              // 000000004824: 0B008180
	v_mul_f32_e32 v129, v129, v65                              // 000000004828: 0B028381
	v_mul_f32_e32 v130, v130, v66                              // 00000000482C: 0B048582
	v_mul_f32_e32 v131, v131, v67                              // 000000004830: 0B068783
	buffer_load_dwordx4 a[8:11], v38, s[12:15], 0 offen        // 000000004834: E05C1000 80830826
	v_mul_f32_e64 v46, -v132, s6                               // 00000000483C: D105002E 20000D84
	v_mul_f32_e64 v47, -v133, s6                               // 000000004844: D105002F 20000D85
	v_mul_f32_e64 v48, -v134, s6                               // 00000000484C: D1050030 20000D86
	v_mul_f32_e64 v49, -v135, s6                               // 000000004854: D1050031 20000D87
	v_exp_f32_e32 v46, v46                                     // 00000000485C: 7E5C412E
	v_exp_f32_e32 v47, v47                                     // 000000004860: 7E5E412F
	v_exp_f32_e32 v48, v48                                     // 000000004864: 7E604130
	v_exp_f32_e32 v49, v49                                     // 000000004868: 7E624131
	buffer_load_dwordx4 a[12:15], v39, s[12:15], 0 offen       // 00000000486C: E05C1000 80830C27
	s_add_u32 s12, s78, s12                                    // 000000004874: 800C0C4E
	s_addc_u32 s13, 0, s13                                     // 000000004878: 820D0D80
	v_add_f32_e64 v46, v46, 1.0                                // 00000000487C: D101002E 0001E52E
	v_add_f32_e64 v47, v47, 1.0                                // 000000004884: D101002F 0001E52F
	v_add_f32_e64 v48, v48, 1.0                                // 00000000488C: D1010030 0001E530
	v_add_f32_e64 v49, v49, 1.0                                // 000000004894: D1010031 0001E531
	v_rcp_f32_e32 v46, v46                                     // 00000000489C: 7E5C452E
	v_rcp_f32_e32 v47, v47                                     // 0000000048A0: 7E5E452F
	v_rcp_f32_e32 v48, v48                                     // 0000000048A4: 7E604530
	v_rcp_f32_e32 v49, v49                                     // 0000000048A8: 7E624531
	v_mul_f32_e32 v132, v132, v46                              // 0000000048AC: 0B085D84
	v_mul_f32_e32 v133, v133, v47                              // 0000000048B0: 0B0A5F85
	v_mul_f32_e32 v134, v134, v48                              // 0000000048B4: 0B0C6186
	v_mul_f32_e32 v135, v135, v49                              // 0000000048B8: 0B0E6387
	v_mul_f32_e32 v132, v132, v68                              // 0000000048BC: 0B088984
	v_mul_f32_e32 v133, v133, v69                              // 0000000048C0: 0B0A8B85
	v_mul_f32_e32 v134, v134, v70                              // 0000000048C4: 0B0C8D86
	v_mul_f32_e32 v135, v135, v71                              // 0000000048C8: 0B0E8F87
	s_waitcnt vmcnt(12)                                        // 0000000048CC: BF8C0F7C
	buffer_load_dwordx4 a[16:19], v36, s[12:15], 0 offen       // 0000000048D0: E05C1000 80831024
	v_mul_f32_e64 v46, -v136, s6                               // 0000000048D8: D105002E 20000D88
	v_mul_f32_e64 v47, -v137, s6                               // 0000000048E0: D105002F 20000D89
	v_mul_f32_e64 v48, -v138, s6                               // 0000000048E8: D1050030 20000D8A
	v_mul_f32_e64 v49, -v139, s6                               // 0000000048F0: D1050031 20000D8B
	v_exp_f32_e32 v46, v46                                     // 0000000048F8: 7E5C412E
	v_exp_f32_e32 v47, v47                                     // 0000000048FC: 7E5E412F
	v_exp_f32_e32 v48, v48                                     // 000000004900: 7E604130
	v_exp_f32_e32 v49, v49                                     // 000000004904: 7E624131
	buffer_load_dwordx4 a[20:23], v37, s[12:15], 0 offen       // 000000004908: E05C1000 80831425
	v_add_f32_e64 v46, v46, 1.0                                // 000000004910: D101002E 0001E52E
	v_add_f32_e64 v47, v47, 1.0                                // 000000004918: D101002F 0001E52F
	v_add_f32_e64 v48, v48, 1.0                                // 000000004920: D1010030 0001E530
	v_add_f32_e64 v49, v49, 1.0                                // 000000004928: D1010031 0001E531
	v_rcp_f32_e32 v46, v46                                     // 000000004930: 7E5C452E
	v_rcp_f32_e32 v47, v47                                     // 000000004934: 7E5E452F
	v_rcp_f32_e32 v48, v48                                     // 000000004938: 7E604530
	v_rcp_f32_e32 v49, v49                                     // 00000000493C: 7E624531
	v_mul_f32_e32 v136, v136, v46                              // 000000004940: 0B105D88
	v_mul_f32_e32 v137, v137, v47                              // 000000004944: 0B125F89
	v_mul_f32_e32 v138, v138, v48                              // 000000004948: 0B14618A
	v_mul_f32_e32 v139, v139, v49                              // 00000000494C: 0B16638B
	v_mul_f32_e32 v136, v136, v72                              // 000000004950: 0B109188
	v_mul_f32_e32 v137, v137, v73                              // 000000004954: 0B129389
	v_mul_f32_e32 v138, v138, v74                              // 000000004958: 0B14958A
	v_mul_f32_e32 v139, v139, v75                              // 00000000495C: 0B16978B
	buffer_load_dwordx4 a[24:27], v38, s[12:15], 0 offen       // 000000004960: E05C1000 80831826
	v_mul_f32_e64 v46, -v140, s6                               // 000000004968: D105002E 20000D8C
	v_mul_f32_e64 v47, -v141, s6                               // 000000004970: D105002F 20000D8D
	v_mul_f32_e64 v48, -v142, s6                               // 000000004978: D1050030 20000D8E
	v_mul_f32_e64 v49, -v143, s6                               // 000000004980: D1050031 20000D8F
	v_exp_f32_e32 v46, v46                                     // 000000004988: 7E5C412E
	v_exp_f32_e32 v47, v47                                     // 00000000498C: 7E5E412F
	v_exp_f32_e32 v48, v48                                     // 000000004990: 7E604130
	v_exp_f32_e32 v49, v49                                     // 000000004994: 7E624131
	buffer_load_dwordx4 a[28:31], v39, s[12:15], 0 offen       // 000000004998: E05C1000 80831C27
	s_add_u32 s12, s78, s12                                    // 0000000049A0: 800C0C4E
	s_addc_u32 s13, 0, s13                                     // 0000000049A4: 820D0D80
	v_add_f32_e64 v46, v46, 1.0                                // 0000000049A8: D101002E 0001E52E
	v_add_f32_e64 v47, v47, 1.0                                // 0000000049B0: D101002F 0001E52F
	v_add_f32_e64 v48, v48, 1.0                                // 0000000049B8: D1010030 0001E530
	v_add_f32_e64 v49, v49, 1.0                                // 0000000049C0: D1010031 0001E531
	v_rcp_f32_e32 v46, v46                                     // 0000000049C8: 7E5C452E
	v_rcp_f32_e32 v47, v47                                     // 0000000049CC: 7E5E452F
	v_rcp_f32_e32 v48, v48                                     // 0000000049D0: 7E604530
	v_rcp_f32_e32 v49, v49                                     // 0000000049D4: 7E624531
	v_mul_f32_e32 v140, v140, v46                              // 0000000049D8: 0B185D8C
	v_mul_f32_e32 v141, v141, v47                              // 0000000049DC: 0B1A5F8D
	v_mul_f32_e32 v142, v142, v48                              // 0000000049E0: 0B1C618E
	v_mul_f32_e32 v143, v143, v49                              // 0000000049E4: 0B1E638F
	v_mul_f32_e32 v140, v140, v76                              // 0000000049E8: 0B18998C
	v_mul_f32_e32 v141, v141, v77                              // 0000000049EC: 0B1A9B8D
	v_mul_f32_e32 v142, v142, v78                              // 0000000049F0: 0B1C9D8E
	v_mul_f32_e32 v143, v143, v79                              // 0000000049F4: 0B1E9F8F
	s_waitcnt vmcnt(12)                                        // 0000000049F8: BF8C0F7C
	buffer_load_dwordx4 a[32:35], v36, s[12:15], 0 offen       // 0000000049FC: E05C1000 80832024
	v_mul_f32_e64 v46, -v144, s6                               // 000000004A04: D105002E 20000D90
	v_mul_f32_e64 v47, -v145, s6                               // 000000004A0C: D105002F 20000D91
	v_mul_f32_e64 v48, -v146, s6                               // 000000004A14: D1050030 20000D92
	v_mul_f32_e64 v49, -v147, s6                               // 000000004A1C: D1050031 20000D93
	v_exp_f32_e32 v46, v46                                     // 000000004A24: 7E5C412E
	v_exp_f32_e32 v47, v47                                     // 000000004A28: 7E5E412F
	v_exp_f32_e32 v48, v48                                     // 000000004A2C: 7E604130
	v_exp_f32_e32 v49, v49                                     // 000000004A30: 7E624131
	buffer_load_dwordx4 a[36:39], v37, s[12:15], 0 offen       // 000000004A34: E05C1000 80832425
	v_add_f32_e64 v46, v46, 1.0                                // 000000004A3C: D101002E 0001E52E
	v_add_f32_e64 v47, v47, 1.0                                // 000000004A44: D101002F 0001E52F
	v_add_f32_e64 v48, v48, 1.0                                // 000000004A4C: D1010030 0001E530
	v_add_f32_e64 v49, v49, 1.0                                // 000000004A54: D1010031 0001E531
	v_rcp_f32_e32 v46, v46                                     // 000000004A5C: 7E5C452E
	v_rcp_f32_e32 v47, v47                                     // 000000004A60: 7E5E452F
	v_rcp_f32_e32 v48, v48                                     // 000000004A64: 7E604530
	v_rcp_f32_e32 v49, v49                                     // 000000004A68: 7E624531
	v_mul_f32_e32 v144, v144, v46                              // 000000004A6C: 0B205D90
	v_mul_f32_e32 v145, v145, v47                              // 000000004A70: 0B225F91
	v_mul_f32_e32 v146, v146, v48                              // 000000004A74: 0B246192
	v_mul_f32_e32 v147, v147, v49                              // 000000004A78: 0B266393
	v_mul_f32_e32 v144, v144, v80                              // 000000004A7C: 0B20A190
	v_mul_f32_e32 v145, v145, v81                              // 000000004A80: 0B22A391
	v_mul_f32_e32 v146, v146, v82                              // 000000004A84: 0B24A592
	v_mul_f32_e32 v147, v147, v83                              // 000000004A88: 0B26A793
	buffer_load_dwordx4 a[40:43], v38, s[12:15], 0 offen       // 000000004A8C: E05C1000 80832826
	v_mul_f32_e64 v46, -v148, s6                               // 000000004A94: D105002E 20000D94
	v_mul_f32_e64 v47, -v149, s6                               // 000000004A9C: D105002F 20000D95
	v_mul_f32_e64 v48, -v150, s6                               // 000000004AA4: D1050030 20000D96
	v_mul_f32_e64 v49, -v151, s6                               // 000000004AAC: D1050031 20000D97
	v_exp_f32_e32 v46, v46                                     // 000000004AB4: 7E5C412E
	v_exp_f32_e32 v47, v47                                     // 000000004AB8: 7E5E412F
	v_exp_f32_e32 v48, v48                                     // 000000004ABC: 7E604130
	v_exp_f32_e32 v49, v49                                     // 000000004AC0: 7E624131
	buffer_load_dwordx4 a[44:47], v39, s[12:15], 0 offen       // 000000004AC4: E05C1000 80832C27
	s_add_u32 s12, s78, s12                                    // 000000004ACC: 800C0C4E
	s_addc_u32 s13, 0, s13                                     // 000000004AD0: 820D0D80
	v_add_f32_e64 v46, v46, 1.0                                // 000000004AD4: D101002E 0001E52E
	v_add_f32_e64 v47, v47, 1.0                                // 000000004ADC: D101002F 0001E52F
	v_add_f32_e64 v48, v48, 1.0                                // 000000004AE4: D1010030 0001E530
	v_add_f32_e64 v49, v49, 1.0                                // 000000004AEC: D1010031 0001E531
	v_rcp_f32_e32 v46, v46                                     // 000000004AF4: 7E5C452E
	v_rcp_f32_e32 v47, v47                                     // 000000004AF8: 7E5E452F
	v_rcp_f32_e32 v48, v48                                     // 000000004AFC: 7E604530
	v_rcp_f32_e32 v49, v49                                     // 000000004B00: 7E624531
	v_mul_f32_e32 v148, v148, v46                              // 000000004B04: 0B285D94
	v_mul_f32_e32 v149, v149, v47                              // 000000004B08: 0B2A5F95
	v_mul_f32_e32 v150, v150, v48                              // 000000004B0C: 0B2C6196
	v_mul_f32_e32 v151, v151, v49                              // 000000004B10: 0B2E6397
	v_mul_f32_e32 v148, v148, v84                              // 000000004B14: 0B28A994
	v_mul_f32_e32 v149, v149, v85                              // 000000004B18: 0B2AAB95
	v_mul_f32_e32 v150, v150, v86                              // 000000004B1C: 0B2CAD96
	v_mul_f32_e32 v151, v151, v87                              // 000000004B20: 0B2EAF97
	s_waitcnt vmcnt(12)                                        // 000000004B24: BF8C0F7C
	buffer_load_dwordx4 a[48:51], v36, s[12:15], 0 offen       // 000000004B28: E05C1000 80833024
	v_mul_f32_e64 v46, -v152, s6                               // 000000004B30: D105002E 20000D98
	v_mul_f32_e64 v47, -v153, s6                               // 000000004B38: D105002F 20000D99
	v_mul_f32_e64 v48, -v154, s6                               // 000000004B40: D1050030 20000D9A
	v_mul_f32_e64 v49, -v155, s6                               // 000000004B48: D1050031 20000D9B
	v_exp_f32_e32 v46, v46                                     // 000000004B50: 7E5C412E
	v_exp_f32_e32 v47, v47                                     // 000000004B54: 7E5E412F
	v_exp_f32_e32 v48, v48                                     // 000000004B58: 7E604130
	v_exp_f32_e32 v49, v49                                     // 000000004B5C: 7E624131
	buffer_load_dwordx4 a[52:55], v37, s[12:15], 0 offen       // 000000004B60: E05C1000 80833425
	v_add_f32_e64 v46, v46, 1.0                                // 000000004B68: D101002E 0001E52E
	v_add_f32_e64 v47, v47, 1.0                                // 000000004B70: D101002F 0001E52F
	v_add_f32_e64 v48, v48, 1.0                                // 000000004B78: D1010030 0001E530
	v_add_f32_e64 v49, v49, 1.0                                // 000000004B80: D1010031 0001E531
	v_rcp_f32_e32 v46, v46                                     // 000000004B88: 7E5C452E
	v_rcp_f32_e32 v47, v47                                     // 000000004B8C: 7E5E452F
	v_rcp_f32_e32 v48, v48                                     // 000000004B90: 7E604530
	v_rcp_f32_e32 v49, v49                                     // 000000004B94: 7E624531
	v_mul_f32_e32 v152, v152, v46                              // 000000004B98: 0B305D98
	v_mul_f32_e32 v153, v153, v47                              // 000000004B9C: 0B325F99
	v_mul_f32_e32 v154, v154, v48                              // 000000004BA0: 0B34619A
	v_mul_f32_e32 v155, v155, v49                              // 000000004BA4: 0B36639B
	v_mul_f32_e32 v152, v152, v88                              // 000000004BA8: 0B30B198
	v_mul_f32_e32 v153, v153, v89                              // 000000004BAC: 0B32B399
	v_mul_f32_e32 v154, v154, v90                              // 000000004BB0: 0B34B59A
	v_mul_f32_e32 v155, v155, v91                              // 000000004BB4: 0B36B79B
	buffer_load_dwordx4 a[56:59], v38, s[12:15], 0 offen       // 000000004BB8: E05C1000 80833826
	v_mul_f32_e64 v46, -v156, s6                               // 000000004BC0: D105002E 20000D9C
	v_mul_f32_e64 v47, -v157, s6                               // 000000004BC8: D105002F 20000D9D
	v_mul_f32_e64 v48, -v158, s6                               // 000000004BD0: D1050030 20000D9E
	v_mul_f32_e64 v49, -v159, s6                               // 000000004BD8: D1050031 20000D9F
	v_exp_f32_e32 v46, v46                                     // 000000004BE0: 7E5C412E
	v_exp_f32_e32 v47, v47                                     // 000000004BE4: 7E5E412F
	v_exp_f32_e32 v48, v48                                     // 000000004BE8: 7E604130
	v_exp_f32_e32 v49, v49                                     // 000000004BEC: 7E624131
	buffer_load_dwordx4 a[60:63], v39, s[12:15], 0 offen       // 000000004BF0: E05C1000 80833C27
	v_add_f32_e64 v46, v46, 1.0                                // 000000004BF8: D101002E 0001E52E
	v_add_f32_e64 v47, v47, 1.0                                // 000000004C00: D101002F 0001E52F
	v_add_f32_e64 v48, v48, 1.0                                // 000000004C08: D1010030 0001E530
	v_add_f32_e64 v49, v49, 1.0                                // 000000004C10: D1010031 0001E531
	v_rcp_f32_e32 v46, v46                                     // 000000004C18: 7E5C452E
	v_rcp_f32_e32 v47, v47                                     // 000000004C1C: 7E5E452F
	v_rcp_f32_e32 v48, v48                                     // 000000004C20: 7E604530
	v_rcp_f32_e32 v49, v49                                     // 000000004C24: 7E624531
	v_mul_f32_e32 v156, v156, v46                              // 000000004C28: 0B385D9C
	v_mul_f32_e32 v157, v157, v47                              // 000000004C2C: 0B3A5F9D
	v_mul_f32_e32 v158, v158, v48                              // 000000004C30: 0B3C619E
	v_mul_f32_e32 v159, v159, v49                              // 000000004C34: 0B3E639F
	v_mul_f32_e32 v156, v156, v92                              // 000000004C38: 0B38B99C
	v_mul_f32_e32 v157, v157, v93                              // 000000004C3C: 0B3ABB9D
	v_mul_f32_e32 v158, v158, v94                              // 000000004C40: 0B3CBD9E
	v_mul_f32_e32 v159, v159, v95                              // 000000004C44: 0B3EBF9F
	v_lshlrev_b32_e32 v46, 2, v0                               // 000000004C48: 245C0082
	s_mul_i32 s60, s82, s71                                    // 000000004C4C: 923C4752
	v_add_u32_e64 v80, v46, s60                                // 000000004C50: D1340050 0000792E
	v_mov_b32_e32 v81, 0                                       // 000000004C58: 7EA20280
	s_mul_i32 s60, s83, s71                                    // 000000004C5C: 923C4753
	v_add_u32_e64 v82, v46, s60                                // 000000004C60: D1340052 0000792E
	v_mov_b32_e32 v83, 0                                       // 000000004C68: 7EA60280
	s_mul_i32 s60, s84, s71                                    // 000000004C6C: 923C4754
	v_add_u32_e64 v84, v46, s60                                // 000000004C70: D1340054 0000792E
	v_mov_b32_e32 v85, 0                                       // 000000004C78: 7EAA0280
	s_mul_i32 s60, s85, s71                                    // 000000004C7C: 923C4755
	v_add_u32_e64 v86, v46, s60                                // 000000004C80: D1340056 0000792E
	v_mov_b32_e32 v87, 0                                       // 000000004C88: 7EAE0280
	s_mul_i32 s60, s86, s71                                    // 000000004C8C: 923C4756
	v_add_u32_e64 v88, v46, s60                                // 000000004C90: D1340058 0000792E
	v_mov_b32_e32 v89, 0                                       // 000000004C98: 7EB20280
	s_mul_i32 s60, s87, s71                                    // 000000004C9C: 923C4757
	v_add_u32_e64 v90, v46, s60                                // 000000004CA0: D134005A 0000792E
	v_mov_b32_e32 v91, 0                                       // 000000004CA8: 7EB60280
	s_mul_i32 s60, s88, s71                                    // 000000004CAC: 923C4758
	v_add_u32_e64 v92, v46, s60                                // 000000004CB0: D134005C 0000792E
	v_mov_b32_e32 v93, 0                                       // 000000004CB8: 7EBA0280
	s_mul_i32 s60, s89, s71                                    // 000000004CBC: 923C4759
	v_add_u32_e64 v94, v46, s60                                // 000000004CC0: D134005E 0000792E
	v_mov_b32_e32 v95, 0                                       // 000000004CC8: 7EBE0280
	buffer_load_dword v11, v5, s[16:19], 0 offen               // 000000004CCC: E0501000 80040B05
	v_mov_b32_e32 v20, 0x358637bd                              // 000000004CD4: 7E2802FF 358637BD
	v_mov_b32_e32 v21, 0x358637bd                              // 000000004CDC: 7E2A02FF 358637BD
	v_max3_f32 v20, |v128|, |v129|, v20                        // 000000004CE4: D1D30314 04530380
	v_max3_f32 v20, |v130|, |v131|, v20                        // 000000004CEC: D1D30314 04530782
	v_max3_f32 v21, |v132|, |v133|, v21                        // 000000004CF4: D1D30315 04570B84
	v_max3_f32 v21, |v134|, |v135|, v21                        // 000000004CFC: D1D30315 04570F86
	v_max3_f32 v20, |v136|, |v137|, v20                        // 000000004D04: D1D30314 04531388
	v_max3_f32 v20, |v138|, |v139|, v20                        // 000000004D0C: D1D30314 0453178A
	v_max3_f32 v21, |v140|, |v141|, v21                        // 000000004D14: D1D30315 04571B8C
	v_max3_f32 v21, |v142|, |v143|, v21                        // 000000004D1C: D1D30315 04571F8E
	v_max3_f32 v20, |v144|, |v145|, v20                        // 000000004D24: D1D30314 04532390
	v_max3_f32 v20, |v146|, |v147|, v20                        // 000000004D2C: D1D30314 04532792
	v_max3_f32 v21, |v148|, |v149|, v21                        // 000000004D34: D1D30315 04572B94
	v_max3_f32 v21, |v150|, |v151|, v21                        // 000000004D3C: D1D30315 04572F96
	v_max3_f32 v20, |v152|, |v153|, v20                        // 000000004D44: D1D30314 04533398
	v_max3_f32 v20, |v154|, |v155|, v20                        // 000000004D4C: D1D30314 0453379A
	v_max3_f32 v21, |v156|, |v157|, v21                        // 000000004D54: D1D30315 04573B9C
	v_max3_f32 v21, |v158|, |v159|, v21                        // 000000004D5C: D1D30315 04573F9E
	v_lshlrev_b32_e32 v46, 3, v0                               // 000000004D64: 245C0083
	s_mul_i32 s60, 0x200, s7                                   // 000000004D68: 923C07FF 00000200
	v_add_u32_e32 v46, s60, v46                                // 000000004D70: 685C5C3C
	ds_write_b64 v46, v[20:21] offset:16640                    // 000000004D74: D89A4100 0000142E
	s_waitcnt lgkmcnt(0)                                       // 000000004D7C: BF8CC07F
	s_barrier                                                  // 000000004D80: BF8A0000
	v_and_b32_e32 v46, 15, v0                                  // 000000004D84: 265C008F
	v_lshlrev_b32_e32 v46, 3, v46                              // 000000004D88: 245C5C83
	ds_read_b64 v[96:97], v46 offset:16640                     // 000000004D8C: D8EC4100 6000002E
	ds_read_b64 v[98:99], v46 offset:16768                     // 000000004D94: D8EC4180 6200002E
	ds_read_b64 v[100:101], v46 offset:16896                   // 000000004D9C: D8EC4200 6400002E
	ds_read_b64 v[102:103], v46 offset:17024                   // 000000004DA4: D8EC4280 6600002E
	ds_read_b64 v[104:105], v46 offset:17152                   // 000000004DAC: D8EC4300 6800002E
	ds_read_b64 v[106:107], v46 offset:17280                   // 000000004DB4: D8EC4380 6A00002E
	ds_read_b64 v[108:109], v46 offset:17408                   // 000000004DBC: D8EC4400 6C00002E
	ds_read_b64 v[110:111], v46 offset:17536                   // 000000004DC4: D8EC4480 6E00002E
	ds_read_b64 v[112:113], v46 offset:17664                   // 000000004DCC: D8EC4500 7000002E
	ds_read_b64 v[114:115], v46 offset:17792                   // 000000004DD4: D8EC4580 7200002E
	ds_read_b64 v[116:117], v46 offset:17920                   // 000000004DDC: D8EC4600 7400002E
	ds_read_b64 v[118:119], v46 offset:18048                   // 000000004DE4: D8EC4680 7600002E
	ds_read_b64 v[120:121], v46 offset:18176                   // 000000004DEC: D8EC4700 7800002E
	ds_read_b64 v[122:123], v46 offset:18304                   // 000000004DF4: D8EC4780 7A00002E
	ds_read_b64 v[124:125], v46 offset:18432                   // 000000004DFC: D8EC4800 7C00002E
	ds_read_b64 v[126:127], v46 offset:18560                   // 000000004E04: D8EC4880 7E00002E
	s_waitcnt lgkmcnt(0)                                       // 000000004E0C: BF8CC07F
	v_max3_f32 v20, |v96|, |v98|, v20                          // 000000004E10: D1D30314 0452C560
	v_max3_f32 v21, |v97|, |v99|, v21                          // 000000004E18: D1D30315 0456C761
	v_max3_f32 v20, |v100|, |v102|, v20                        // 000000004E20: D1D30314 0452CD64
	v_max3_f32 v21, |v101|, |v103|, v21                        // 000000004E28: D1D30315 0456CF65
	v_max3_f32 v20, |v104|, |v106|, v20                        // 000000004E30: D1D30314 0452D568
	v_max3_f32 v21, |v105|, |v107|, v21                        // 000000004E38: D1D30315 0456D769
	v_max3_f32 v20, |v108|, |v110|, v20                        // 000000004E40: D1D30314 0452DD6C
	v_max3_f32 v21, |v109|, |v111|, v21                        // 000000004E48: D1D30315 0456DF6D
	v_max3_f32 v20, |v112|, |v114|, v20                        // 000000004E50: D1D30314 0452E570
	v_max3_f32 v21, |v113|, |v115|, v21                        // 000000004E58: D1D30315 0456E771
	v_max3_f32 v20, |v116|, |v118|, v20                        // 000000004E60: D1D30314 0452ED74
	v_max3_f32 v21, |v117|, |v119|, v21                        // 000000004E68: D1D30315 0456EF75
	v_max3_f32 v20, |v120|, |v122|, v20                        // 000000004E70: D1D30314 0452F578
	v_max3_f32 v21, |v121|, |v123|, v21                        // 000000004E78: D1D30315 0456F779
	v_max3_f32 v20, |v124|, |v126|, v20                        // 000000004E80: D1D30314 0452FD7C
	v_max3_f32 v21, |v125|, |v127|, v21                        // 000000004E88: D1D30315 0456FF7D
	v_rcp_f32_e32 v20, v20                                     // 000000004E90: 7E284514
	v_rcp_f32_e32 v21, v21                                     // 000000004E94: 7E2A4515
	v_mov_b32_e32 v46, 0x43700000                              // 000000004E98: 7E5C02FF 43700000
	v_mul_f32_e32 v20, v46, v20                                // 000000004EA0: 0A28292E
	v_mul_f32_e32 v21, v46, v21                                // 000000004EA4: 0A2A2B2E
	v_mul_f32_e32 v128, v20, v128                              // 000000004EA8: 0B010114
	v_mul_f32_e32 v129, v20, v129                              // 000000004EAC: 0B030314
	v_mul_f32_e32 v130, v20, v130                              // 000000004EB0: 0B050514
	v_mul_f32_e32 v131, v20, v131                              // 000000004EB4: 0B070714
	v_cvt_pk_fp8_f32 v128, v128, v129                          // 000000004EB8: D2A20080 00030380
	v_cvt_pk_fp8_f32 v128, v130, v131 op_sel:[0,0,1]           // 000000004EC0: D2A24080 00030782
	v_mul_f32_e32 v132, v21, v132                              // 000000004EC8: 0B090915
	v_mul_f32_e32 v133, v21, v133                              // 000000004ECC: 0B0B0B15
	v_mul_f32_e32 v134, v21, v134                              // 000000004ED0: 0B0D0D15
	v_mul_f32_e32 v135, v21, v135                              // 000000004ED4: 0B0F0F15
	v_cvt_pk_fp8_f32 v129, v132, v133                          // 000000004ED8: D2A20081 00030B84
	v_cvt_pk_fp8_f32 v129, v134, v135 op_sel:[0,0,1]           // 000000004EE0: D2A24081 00030F86
	v_mul_f32_e32 v136, v20, v136                              // 000000004EE8: 0B111114
	v_mul_f32_e32 v137, v20, v137                              // 000000004EEC: 0B131314
	v_mul_f32_e32 v138, v20, v138                              // 000000004EF0: 0B151514
	v_mul_f32_e32 v139, v20, v139                              // 000000004EF4: 0B171714
	v_cvt_pk_fp8_f32 v130, v136, v137                          // 000000004EF8: D2A20082 00031388
	v_cvt_pk_fp8_f32 v130, v138, v139 op_sel:[0,0,1]           // 000000004F00: D2A24082 0003178A
	v_mul_f32_e32 v140, v21, v140                              // 000000004F08: 0B191915
	v_mul_f32_e32 v141, v21, v141                              // 000000004F0C: 0B1B1B15
	v_mul_f32_e32 v142, v21, v142                              // 000000004F10: 0B1D1D15
	v_mul_f32_e32 v143, v21, v143                              // 000000004F14: 0B1F1F15
	v_cvt_pk_fp8_f32 v131, v140, v141                          // 000000004F18: D2A20083 00031B8C
	v_cvt_pk_fp8_f32 v131, v142, v143 op_sel:[0,0,1]           // 000000004F20: D2A24083 00031F8E
	v_mul_f32_e32 v144, v20, v144                              // 000000004F28: 0B212114
	v_mul_f32_e32 v145, v20, v145                              // 000000004F2C: 0B232314
	v_mul_f32_e32 v146, v20, v146                              // 000000004F30: 0B252514
	v_mul_f32_e32 v147, v20, v147                              // 000000004F34: 0B272714
	v_cvt_pk_fp8_f32 v132, v144, v145                          // 000000004F38: D2A20084 00032390
	v_cvt_pk_fp8_f32 v132, v146, v147 op_sel:[0,0,1]           // 000000004F40: D2A24084 00032792
	v_mul_f32_e32 v148, v21, v148                              // 000000004F48: 0B292915
	v_mul_f32_e32 v149, v21, v149                              // 000000004F4C: 0B2B2B15
	v_mul_f32_e32 v150, v21, v150                              // 000000004F50: 0B2D2D15
	v_mul_f32_e32 v151, v21, v151                              // 000000004F54: 0B2F2F15
	v_cvt_pk_fp8_f32 v133, v148, v149                          // 000000004F58: D2A20085 00032B94
	v_cvt_pk_fp8_f32 v133, v150, v151 op_sel:[0,0,1]           // 000000004F60: D2A24085 00032F96
	v_mul_f32_e32 v152, v20, v152                              // 000000004F68: 0B313114
	v_mul_f32_e32 v153, v20, v153                              // 000000004F6C: 0B333314
	v_mul_f32_e32 v154, v20, v154                              // 000000004F70: 0B353514
	v_mul_f32_e32 v155, v20, v155                              // 000000004F74: 0B373714
	v_cvt_pk_fp8_f32 v134, v152, v153                          // 000000004F78: D2A20086 00033398
	v_cvt_pk_fp8_f32 v134, v154, v155 op_sel:[0,0,1]           // 000000004F80: D2A24086 0003379A
	v_mul_f32_e32 v156, v21, v156                              // 000000004F88: 0B393915
	v_mul_f32_e32 v157, v21, v157                              // 000000004F8C: 0B3B3B15
	v_mul_f32_e32 v158, v21, v158                              // 000000004F90: 0B3D3D15
	v_mul_f32_e32 v159, v21, v159                              // 000000004F94: 0B3F3F15
	v_cvt_pk_fp8_f32 v135, v156, v157                          // 000000004F98: D2A20087 00033B9C
	v_cvt_pk_fp8_f32 v135, v158, v159 op_sel:[0,0,1]           // 000000004FA0: D2A24087 00033F9E
	v_rcp_f32_e32 v22, v20                                     // 000000004FA8: 7E2C4514
	v_rcp_f32_e32 v23, v21                                     // 000000004FAC: 7E2E4515
	v_lshrrev_b32_e32 v46, 5, v0                               // 000000004FB0: 205C0085
	v_lshlrev_b32_e32 v47, 5, v46                              // 000000004FB4: 245E5C85
	v_and_b32_e32 v46, 31, v0                                  // 000000004FB8: 265C009F
	v_lshrrev_b32_e32 v48, 4, v46                              // 000000004FBC: 20605C84
	v_add_u32_e32 v47, v48, v47                                // 000000004FC0: 685E5F30
	v_and_b32_e32 v46, 15, v0                                  // 000000004FC4: 265C008F
	v_lshlrev_b32_e32 v46, 1, v46                              // 000000004FC8: 245C5C81
	v_add_u32_e32 v47, v46, v47                                // 000000004FCC: 685E5F2E
	v_lshlrev_b32_e32 v46, 2, v47                              // 000000004FD0: 245C5E82
	s_mul_i32 s60, 0x100, s7                                   // 000000004FD4: 923C07FF 00000100
	v_add_u32_e64 v46, v46, s60                                // 000000004FDC: D134002E 0000792E
	ds_write_b32 v46, v128 offset:18688                        // 000000004FE4: D81A4900 0000802E
	ds_write_b32 v46, v129 offset:22784                        // 000000004FEC: D81A5900 0000812E
	ds_write_b32 v46, v130 offset:19712                        // 000000004FF4: D81A4D00 0000822E
	ds_write_b32 v46, v131 offset:23808                        // 000000004FFC: D81A5D00 0000832E
	ds_write_b32 v46, v132 offset:20736                        // 000000005004: D81A5100 0000842E
	ds_write_b32 v46, v133 offset:24832                        // 00000000500C: D81A6100 0000852E
	ds_write_b32 v46, v134 offset:21760                        // 000000005014: D81A5500 0000862E
	ds_write_b32 v46, v135 offset:25856                        // 00000000501C: D81A6500 0000872E
	s_waitcnt lgkmcnt(0)                                       // 000000005024: BF8CC07F
	s_barrier                                                  // 000000005028: BF8A0000
	v_lshrrev_b32_e32 v46, 4, v0                               // 00000000502C: 205C0084
	v_lshlrev_b32_e32 v47, 6, v46                              // 000000005030: 245E5C86
	v_and_b32_e32 v46, 15, v0                                  // 000000005034: 265C008F
	v_lshlrev_b32_e32 v46, 1, v46                              // 000000005038: 245C5C81
	v_add_u32_e32 v47, v46, v47                                // 00000000503C: 685E5F2E
	v_lshlrev_b32_e32 v46, 2, v47                              // 000000005040: 245C5E82
	ds_read_b64 v[128:129], v46 offset:18688                   // 000000005044: D8EC4900 8000002E
	ds_read_b64 v[130:131], v46 offset:18816                   // 00000000504C: D8EC4980 8200002E
	ds_read_b64 v[132:133], v46 offset:19712                   // 000000005054: D8EC4D00 8400002E
	ds_read_b64 v[134:135], v46 offset:19840                   // 00000000505C: D8EC4D80 8600002E
	ds_read_b64 v[136:137], v46 offset:20736                   // 000000005064: D8EC5100 8800002E
	ds_read_b64 v[138:139], v46 offset:20864                   // 00000000506C: D8EC5180 8A00002E
	ds_read_b64 v[140:141], v46 offset:21760                   // 000000005074: D8EC5500 8C00002E
	ds_read_b64 v[142:143], v46 offset:21888                   // 00000000507C: D8EC5580 8E00002E
	ds_read_b64 v[144:145], v46 offset:22784                   // 000000005084: D8EC5900 9000002E
	ds_read_b64 v[146:147], v46 offset:22912                   // 00000000508C: D8EC5980 9200002E
	ds_read_b64 v[148:149], v46 offset:23808                   // 000000005094: D8EC5D00 9400002E
	ds_read_b64 v[150:151], v46 offset:23936                   // 00000000509C: D8EC5D80 9600002E
	ds_read_b64 v[152:153], v46 offset:24832                   // 0000000050A4: D8EC6100 9800002E
	ds_read_b64 v[154:155], v46 offset:24960                   // 0000000050AC: D8EC6180 9A00002E
	ds_read_b64 v[156:157], v46 offset:25856                   // 0000000050B4: D8EC6500 9C00002E
	ds_read_b64 v[158:159], v46 offset:25984                   // 0000000050BC: D8EC6580 9E00002E
	s_add_u32 s12, s56, s12                                    // 0000000050C4: 800C0C38
	s_addc_u32 s13, 0, s13                                     // 0000000050C8: 820D0D80
	s_add_u32 s16, s79, s16                                    // 0000000050CC: 8010104F
	s_addc_u32 s17, 0, s17                                     // 0000000050D0: 82111180
	s_mov_b32 s80, 0                                           // 0000000050D4: BED00080
	s_waitcnt vmcnt(0) expcnt(0) lgkmcnt(0)                    // 0000000050D8: BF8C0000

00000000000050dc <label_08B7>:
	s_waitcnt vmcnt(29)                                        // 0000000050DC: BF8C4F7D
	s_barrier                                                  // 0000000050E0: BF8A0000
	v_mfma_f32_16x16x32_fp8_fp8 v[160:163], a[0:1], v[128:129], 0// 0000000050E4: D3F300A0 0A030100
	v_mfma_f32_16x16x32_fp8_fp8 v[160:163], a[2:3], v[130:131], v[160:163]// 0000000050EC: D3F300A0 0E830502
	buffer_load_dwordx4 a[64:67], v36, s[12:15], 0 offen       // 0000000050F4: E05C1000 80834024
	v_mfma_f32_16x16x32_fp8_fp8 v[164:167], a[0:1], v[144:145], 0// 0000000050FC: D3F300A4 0A032100
	v_mfma_f32_16x16x32_fp8_fp8 v[164:167], a[2:3], v[146:147], v[164:167]// 000000005104: D3F300A4 0E932502
	v_mfma_f32_16x16x32_fp8_fp8 v[168:171], a[4:5], v[128:129], 0// 00000000510C: D3F300A8 0A030104
	v_mfma_f32_16x16x32_fp8_fp8 v[168:171], a[6:7], v[130:131], v[168:171]// 000000005114: D3F300A8 0EA30506
	buffer_load_dwordx4 a[68:71], v37, s[12:15], 0 offen       // 00000000511C: E05C1000 80834425
	v_mfma_f32_16x16x32_fp8_fp8 v[172:175], a[4:5], v[144:145], 0// 000000005124: D3F300AC 0A032104
	v_mfma_f32_16x16x32_fp8_fp8 v[172:175], a[6:7], v[146:147], v[172:175]// 00000000512C: D3F300AC 0EB32506
	v_mfma_f32_16x16x32_fp8_fp8 v[176:179], a[8:9], v[128:129], 0// 000000005134: D3F300B0 0A030108
	v_mfma_f32_16x16x32_fp8_fp8 v[176:179], a[10:11], v[130:131], v[176:179]// 00000000513C: D3F300B0 0EC3050A
	buffer_load_dwordx4 a[72:75], v38, s[12:15], 0 offen       // 000000005144: E05C1000 80834826
	v_mfma_f32_16x16x32_fp8_fp8 v[180:183], a[8:9], v[144:145], 0// 00000000514C: D3F300B4 0A032108
	v_mfma_f32_16x16x32_fp8_fp8 v[180:183], a[10:11], v[146:147], v[180:183]// 000000005154: D3F300B4 0ED3250A
	v_mfma_f32_16x16x32_fp8_fp8 v[184:187], a[12:13], v[128:129], 0// 00000000515C: D3F300B8 0A03010C
	v_mfma_f32_16x16x32_fp8_fp8 v[184:187], a[14:15], v[130:131], v[184:187]// 000000005164: D3F300B8 0EE3050E
	buffer_load_dwordx4 a[76:79], v39, s[12:15], 0 offen       // 00000000516C: E05C1000 80834C27
	s_add_u32 s12, s78, s12                                    // 000000005174: 800C0C4E
	s_addc_u32 s13, 0, s13                                     // 000000005178: 820D0D80
	v_mfma_f32_16x16x32_fp8_fp8 v[188:191], a[12:13], v[144:145], 0// 00000000517C: D3F300BC 0A03210C
	v_mfma_f32_16x16x32_fp8_fp8 v[188:191], a[14:15], v[146:147], v[188:191]// 000000005184: D3F300BC 0EF3250E
	s_waitcnt vmcnt(29)                                        // 00000000518C: BF8C4F7D
	v_mfma_f32_16x16x32_fp8_fp8 v[160:163], a[16:17], v[132:133], v[160:163]// 000000005190: D3F300A0 0E830910
	v_mfma_f32_16x16x32_fp8_fp8 v[160:163], a[18:19], v[134:135], v[160:163]// 000000005198: D3F300A0 0E830D12
	buffer_load_dwordx4 a[80:83], v36, s[12:15], 0 offen       // 0000000051A0: E05C1000 80835024
	v_mfma_f32_16x16x32_fp8_fp8 v[164:167], a[16:17], v[148:149], v[164:167]// 0000000051A8: D3F300A4 0E932910
	v_mfma_f32_16x16x32_fp8_fp8 v[164:167], a[18:19], v[150:151], v[164:167]// 0000000051B0: D3F300A4 0E932D12
	v_mfma_f32_16x16x32_fp8_fp8 v[168:171], a[20:21], v[132:133], v[168:171]// 0000000051B8: D3F300A8 0EA30914
	v_mfma_f32_16x16x32_fp8_fp8 v[168:171], a[22:23], v[134:135], v[168:171]// 0000000051C0: D3F300A8 0EA30D16
	buffer_load_dwordx4 a[84:87], v37, s[12:15], 0 offen       // 0000000051C8: E05C1000 80835425
	v_mfma_f32_16x16x32_fp8_fp8 v[172:175], a[20:21], v[148:149], v[172:175]// 0000000051D0: D3F300AC 0EB32914
	v_mfma_f32_16x16x32_fp8_fp8 v[172:175], a[22:23], v[150:151], v[172:175]// 0000000051D8: D3F300AC 0EB32D16
	v_mfma_f32_16x16x32_fp8_fp8 v[176:179], a[24:25], v[132:133], v[176:179]// 0000000051E0: D3F300B0 0EC30918
	v_mfma_f32_16x16x32_fp8_fp8 v[176:179], a[26:27], v[134:135], v[176:179]// 0000000051E8: D3F300B0 0EC30D1A
	buffer_load_dwordx4 a[88:91], v38, s[12:15], 0 offen       // 0000000051F0: E05C1000 80835826
	v_mfma_f32_16x16x32_fp8_fp8 v[180:183], a[24:25], v[148:149], v[180:183]// 0000000051F8: D3F300B4 0ED32918
	v_mfma_f32_16x16x32_fp8_fp8 v[180:183], a[26:27], v[150:151], v[180:183]// 000000005200: D3F300B4 0ED32D1A
	v_mfma_f32_16x16x32_fp8_fp8 v[184:187], a[28:29], v[132:133], v[184:187]// 000000005208: D3F300B8 0EE3091C
	v_mfma_f32_16x16x32_fp8_fp8 v[184:187], a[30:31], v[134:135], v[184:187]// 000000005210: D3F300B8 0EE30D1E
	buffer_load_dwordx4 a[92:95], v39, s[12:15], 0 offen       // 000000005218: E05C1000 80835C27
	s_add_u32 s12, s78, s12                                    // 000000005220: 800C0C4E
	s_addc_u32 s13, 0, s13                                     // 000000005224: 820D0D80
	v_mfma_f32_16x16x32_fp8_fp8 v[188:191], a[28:29], v[148:149], v[188:191]// 000000005228: D3F300BC 0EF3291C
	v_mfma_f32_16x16x32_fp8_fp8 v[188:191], a[30:31], v[150:151], v[188:191]// 000000005230: D3F300BC 0EF32D1E
	s_waitcnt vmcnt(29)                                        // 000000005238: BF8C4F7D
	v_mfma_f32_16x16x32_fp8_fp8 v[160:163], a[32:33], v[136:137], v[160:163]// 00000000523C: D3F300A0 0E831120
	v_mfma_f32_16x16x32_fp8_fp8 v[160:163], a[34:35], v[138:139], v[160:163]// 000000005244: D3F300A0 0E831522
	buffer_load_dwordx4 a[96:99], v36, s[12:15], 0 offen       // 00000000524C: E05C1000 80836024
	v_mfma_f32_16x16x32_fp8_fp8 v[164:167], a[32:33], v[152:153], v[164:167]// 000000005254: D3F300A4 0E933120
	v_mfma_f32_16x16x32_fp8_fp8 v[164:167], a[34:35], v[154:155], v[164:167]// 00000000525C: D3F300A4 0E933522
	v_mfma_f32_16x16x32_fp8_fp8 v[168:171], a[36:37], v[136:137], v[168:171]// 000000005264: D3F300A8 0EA31124
	v_mfma_f32_16x16x32_fp8_fp8 v[168:171], a[38:39], v[138:139], v[168:171]// 00000000526C: D3F300A8 0EA31526
	buffer_load_dwordx4 a[100:103], v37, s[12:15], 0 offen     // 000000005274: E05C1000 80836425
	v_mfma_f32_16x16x32_fp8_fp8 v[172:175], a[36:37], v[152:153], v[172:175]// 00000000527C: D3F300AC 0EB33124
	v_mfma_f32_16x16x32_fp8_fp8 v[172:175], a[38:39], v[154:155], v[172:175]// 000000005284: D3F300AC 0EB33526
	v_mfma_f32_16x16x32_fp8_fp8 v[176:179], a[40:41], v[136:137], v[176:179]// 00000000528C: D3F300B0 0EC31128
	v_mfma_f32_16x16x32_fp8_fp8 v[176:179], a[42:43], v[138:139], v[176:179]// 000000005294: D3F300B0 0EC3152A
	buffer_load_dwordx4 a[104:107], v38, s[12:15], 0 offen     // 00000000529C: E05C1000 80836826
	v_mfma_f32_16x16x32_fp8_fp8 v[180:183], a[40:41], v[152:153], v[180:183]// 0000000052A4: D3F300B4 0ED33128
	v_mfma_f32_16x16x32_fp8_fp8 v[180:183], a[42:43], v[154:155], v[180:183]// 0000000052AC: D3F300B4 0ED3352A
	v_mfma_f32_16x16x32_fp8_fp8 v[184:187], a[44:45], v[136:137], v[184:187]// 0000000052B4: D3F300B8 0EE3112C
	v_mfma_f32_16x16x32_fp8_fp8 v[184:187], a[46:47], v[138:139], v[184:187]// 0000000052BC: D3F300B8 0EE3152E
	buffer_load_dwordx4 a[108:111], v39, s[12:15], 0 offen     // 0000000052C4: E05C1000 80836C27
	s_add_u32 s12, s78, s12                                    // 0000000052CC: 800C0C4E
	s_addc_u32 s13, 0, s13                                     // 0000000052D0: 820D0D80
	v_mfma_f32_16x16x32_fp8_fp8 v[188:191], a[44:45], v[152:153], v[188:191]// 0000000052D4: D3F300BC 0EF3312C
	v_mfma_f32_16x16x32_fp8_fp8 v[188:191], a[46:47], v[154:155], v[188:191]// 0000000052DC: D3F300BC 0EF3352E
	s_waitcnt vmcnt(28)                                        // 0000000052E4: BF8C4F7C
	v_mfma_f32_16x16x32_fp8_fp8 v[160:163], a[48:49], v[140:141], v[160:163]// 0000000052E8: D3F300A0 0E831930
	v_mfma_f32_16x16x32_fp8_fp8 v[160:163], a[50:51], v[142:143], v[160:163]// 0000000052F0: D3F300A0 0E831D32
	buffer_load_dwordx4 a[112:115], v36, s[12:15], 0 offen     // 0000000052F8: E05C1000 80837024
	v_mfma_f32_16x16x32_fp8_fp8 v[164:167], a[48:49], v[156:157], v[164:167]// 000000005300: D3F300A4 0E933930
	v_mfma_f32_16x16x32_fp8_fp8 v[164:167], a[50:51], v[158:159], v[164:167]// 000000005308: D3F300A4 0E933D32
	buffer_load_dword v12, v5, s[16:19], 0 offen               // 000000005310: E0501000 80040C05
	v_mfma_f32_16x16x32_fp8_fp8 v[168:171], a[52:53], v[140:141], v[168:171]// 000000005318: D3F300A8 0EA31934
	v_mfma_f32_16x16x32_fp8_fp8 v[168:171], a[54:55], v[142:143], v[168:171]// 000000005320: D3F300A8 0EA31D36
	buffer_load_dwordx4 a[116:119], v37, s[12:15], 0 offen     // 000000005328: E05C1000 80837425
	v_mfma_f32_16x16x32_fp8_fp8 v[172:175], a[52:53], v[156:157], v[172:175]// 000000005330: D3F300AC 0EB33934
	v_mfma_f32_16x16x32_fp8_fp8 v[172:175], a[54:55], v[158:159], v[172:175]// 000000005338: D3F300AC 0EB33D36
	v_mfma_f32_16x16x32_fp8_fp8 v[176:179], a[56:57], v[140:141], v[176:179]// 000000005340: D3F300B0 0EC31938
	v_mfma_f32_16x16x32_fp8_fp8 v[176:179], a[58:59], v[142:143], v[176:179]// 000000005348: D3F300B0 0EC31D3A
	buffer_load_dwordx4 a[120:123], v38, s[12:15], 0 offen     // 000000005350: E05C1000 80837826
	v_mfma_f32_16x16x32_fp8_fp8 v[180:183], a[56:57], v[156:157], v[180:183]// 000000005358: D3F300B4 0ED33938
	v_mfma_f32_16x16x32_fp8_fp8 v[180:183], a[58:59], v[158:159], v[180:183]// 000000005360: D3F300B4 0ED33D3A
	v_mfma_f32_16x16x32_fp8_fp8 v[184:187], a[60:61], v[140:141], v[184:187]// 000000005368: D3F300B8 0EE3193C
	v_mfma_f32_16x16x32_fp8_fp8 v[184:187], a[62:63], v[142:143], v[184:187]// 000000005370: D3F300B8 0EE31D3E
	buffer_load_dwordx4 a[124:127], v39, s[12:15], 0 offen     // 000000005378: E05C1000 80837C27
	v_mfma_f32_16x16x32_fp8_fp8 v[188:191], a[60:61], v[156:157], v[188:191]// 000000005380: D3F300BC 0EF3393C
	v_mfma_f32_16x16x32_fp8_fp8 v[188:191], a[62:63], v[158:159], v[188:191]// 000000005388: D3F300BC 0EF33D3E
	s_add_u32 s60, 0x200, s80                                  // 000000005390: 803C50FF 00000200
	s_cmp_lt_u32 s60, s81                                      // 000000005398: BF0A513C
	s_cselect_b32 s56, s56, 0                                  // 00000000539C: 85388038
	s_cselect_b32 s78, s78, 0                                  // 0000000053A0: 854E804E
	s_cselect_b32 s79, s79, 0                                  // 0000000053A4: 854F804F
	s_add_u32 s12, s56, s12                                    // 0000000053A8: 800C0C38
	s_addc_u32 s13, 0, s13                                     // 0000000053AC: 820D0D80
	s_add_u32 s16, s79, s16                                    // 0000000053B0: 8010104F
	s_addc_u32 s17, 0, s17                                     // 0000000053B4: 82111180
	v_mul_f32_e32 v160, v22, v160                              // 0000000053B8: 0B414116
	v_mul_f32_e32 v161, v22, v161                              // 0000000053BC: 0B434316
	v_mul_f32_e32 v162, v22, v162                              // 0000000053C0: 0B454516
	v_mul_f32_e32 v163, v22, v163                              // 0000000053C4: 0B474716
	v_mul_f32_dpp v160, v11, v160 row_newbcast:0 row_mask:0xf bank_mask:0xf// 0000000053C8: 0B4140FA FF01500B
	v_mul_f32_dpp v161, v11, v161 row_newbcast:1 row_mask:0xf bank_mask:0xf// 0000000053D0: 0B4342FA FF01510B
	v_mul_f32_dpp v162, v11, v162 row_newbcast:2 row_mask:0xf bank_mask:0xf// 0000000053D8: 0B4544FA FF01520B
	v_mul_f32_dpp v163, v11, v163 row_newbcast:3 row_mask:0xf bank_mask:0xf// 0000000053E0: 0B4746FA FF01530B
	v_mul_f32_e32 v164, v23, v164                              // 0000000053E8: 0B494917
	v_mul_f32_e32 v165, v23, v165                              // 0000000053EC: 0B4B4B17
	v_mul_f32_e32 v166, v23, v166                              // 0000000053F0: 0B4D4D17
	v_mul_f32_e32 v167, v23, v167                              // 0000000053F4: 0B4F4F17
	v_mul_f32_dpp v164, v11, v164 row_newbcast:0 row_mask:0xf bank_mask:0xf// 0000000053F8: 0B4948FA FF01500B
	v_mul_f32_dpp v165, v11, v165 row_newbcast:1 row_mask:0xf bank_mask:0xf// 000000005400: 0B4B4AFA FF01510B
	v_mul_f32_dpp v166, v11, v166 row_newbcast:2 row_mask:0xf bank_mask:0xf// 000000005408: 0B4D4CFA FF01520B
	v_mul_f32_dpp v167, v11, v167 row_newbcast:3 row_mask:0xf bank_mask:0xf// 000000005410: 0B4F4EFA FF01530B
	v_mul_f32_e32 v168, v22, v168                              // 000000005418: 0B515116
	v_mul_f32_e32 v169, v22, v169                              // 00000000541C: 0B535316
	v_mul_f32_e32 v170, v22, v170                              // 000000005420: 0B555516
	v_mul_f32_e32 v171, v22, v171                              // 000000005424: 0B575716
	v_mul_f32_dpp v168, v11, v168 row_newbcast:4 row_mask:0xf bank_mask:0xf// 000000005428: 0B5150FA FF01540B
	v_mul_f32_dpp v169, v11, v169 row_newbcast:5 row_mask:0xf bank_mask:0xf// 000000005430: 0B5352FA FF01550B
	v_mul_f32_dpp v170, v11, v170 row_newbcast:6 row_mask:0xf bank_mask:0xf// 000000005438: 0B5554FA FF01560B
	v_mul_f32_dpp v171, v11, v171 row_newbcast:7 row_mask:0xf bank_mask:0xf// 000000005440: 0B5756FA FF01570B
	v_mul_f32_e32 v172, v23, v172                              // 000000005448: 0B595917
	v_mul_f32_e32 v173, v23, v173                              // 00000000544C: 0B5B5B17
	v_mul_f32_e32 v174, v23, v174                              // 000000005450: 0B5D5D17
	v_mul_f32_e32 v175, v23, v175                              // 000000005454: 0B5F5F17
	v_mul_f32_dpp v172, v11, v172 row_newbcast:4 row_mask:0xf bank_mask:0xf// 000000005458: 0B5958FA FF01540B
	v_mul_f32_dpp v173, v11, v173 row_newbcast:5 row_mask:0xf bank_mask:0xf// 000000005460: 0B5B5AFA FF01550B
	v_mul_f32_dpp v174, v11, v174 row_newbcast:6 row_mask:0xf bank_mask:0xf// 000000005468: 0B5D5CFA FF01560B
	v_mul_f32_dpp v175, v11, v175 row_newbcast:7 row_mask:0xf bank_mask:0xf// 000000005470: 0B5F5EFA FF01570B
	v_mul_f32_e32 v176, v22, v176                              // 000000005478: 0B616116
	v_mul_f32_e32 v177, v22, v177                              // 00000000547C: 0B636316
	v_mul_f32_e32 v178, v22, v178                              // 000000005480: 0B656516
	v_mul_f32_e32 v179, v22, v179                              // 000000005484: 0B676716
	v_mul_f32_dpp v176, v11, v176 row_newbcast:8 row_mask:0xf bank_mask:0xf// 000000005488: 0B6160FA FF01580B
	v_mul_f32_dpp v177, v11, v177 row_newbcast:9 row_mask:0xf bank_mask:0xf// 000000005490: 0B6362FA FF01590B
	v_mul_f32_dpp v178, v11, v178 row_newbcast:10 row_mask:0xf bank_mask:0xf// 000000005498: 0B6564FA FF015A0B
	v_mul_f32_dpp v179, v11, v179 row_newbcast:11 row_mask:0xf bank_mask:0xf// 0000000054A0: 0B6766FA FF015B0B
	v_mul_f32_e32 v180, v23, v180                              // 0000000054A8: 0B696917
	v_mul_f32_e32 v181, v23, v181                              // 0000000054AC: 0B6B6B17
	v_mul_f32_e32 v182, v23, v182                              // 0000000054B0: 0B6D6D17
	v_mul_f32_e32 v183, v23, v183                              // 0000000054B4: 0B6F6F17
	v_mul_f32_dpp v180, v11, v180 row_newbcast:8 row_mask:0xf bank_mask:0xf// 0000000054B8: 0B6968FA FF01580B
	v_mul_f32_dpp v181, v11, v181 row_newbcast:9 row_mask:0xf bank_mask:0xf// 0000000054C0: 0B6B6AFA FF01590B
	v_mul_f32_dpp v182, v11, v182 row_newbcast:10 row_mask:0xf bank_mask:0xf// 0000000054C8: 0B6D6CFA FF015A0B
	v_mul_f32_dpp v183, v11, v183 row_newbcast:11 row_mask:0xf bank_mask:0xf// 0000000054D0: 0B6F6EFA FF015B0B
	v_mul_f32_e32 v184, v22, v184                              // 0000000054D8: 0B717116
	v_mul_f32_e32 v185, v22, v185                              // 0000000054DC: 0B737316
	v_mul_f32_e32 v186, v22, v186                              // 0000000054E0: 0B757516
	v_mul_f32_e32 v187, v22, v187                              // 0000000054E4: 0B777716
	v_mul_f32_dpp v184, v11, v184 row_newbcast:12 row_mask:0xf bank_mask:0xf// 0000000054E8: 0B7170FA FF015C0B
	v_mul_f32_dpp v185, v11, v185 row_newbcast:13 row_mask:0xf bank_mask:0xf// 0000000054F0: 0B7372FA FF015D0B
	v_mul_f32_dpp v186, v11, v186 row_newbcast:14 row_mask:0xf bank_mask:0xf// 0000000054F8: 0B7574FA FF015E0B
	v_mul_f32_dpp v187, v11, v187 row_newbcast:15 row_mask:0xf bank_mask:0xf// 000000005500: 0B7776FA FF015F0B
	v_mul_f32_e32 v188, v23, v188                              // 000000005508: 0B797917
	v_mul_f32_e32 v189, v23, v189                              // 00000000550C: 0B7B7B17
	v_mul_f32_e32 v190, v23, v190                              // 000000005510: 0B7D7D17
	v_mul_f32_e32 v191, v23, v191                              // 000000005514: 0B7F7F17
	v_mul_f32_dpp v188, v11, v188 row_newbcast:12 row_mask:0xf bank_mask:0xf// 000000005518: 0B7978FA FF015C0B
	v_mul_f32_dpp v189, v11, v189 row_newbcast:13 row_mask:0xf bank_mask:0xf// 000000005520: 0B7B7AFA FF015D0B
	v_mul_f32_dpp v190, v11, v190 row_newbcast:14 row_mask:0xf bank_mask:0xf// 000000005528: 0B7D7CFA FF015E0B
	v_mul_f32_dpp v191, v11, v191 row_newbcast:15 row_mask:0xf bank_mask:0xf// 000000005530: 0B7F7EFA FF015F0B
	v_cmp_u_f32_e64 s[48:49], v160, v160                       // 000000005538: D0480030 000341A0
	v_add3_u32 v40, v160, v43, 1                               // 000000005540: D1FF0028 020657A0
	v_cndmask_b32_e64 v46, v40, v42, s[48:49]                  // 000000005548: D100002E 00C25528
	v_cmp_u_f32_e64 s[48:49], v161, v161                       // 000000005550: D0480030 000343A1
	v_add3_u32 v40, v161, v43, 1                               // 000000005558: D1FF0028 020657A1
	v_cndmask_b32_e64 v47, v40, v42, s[48:49]                  // 000000005560: D100002F 00C25528
	v_perm_b32 v160, v47, v46, s52                             // 000000005568: D1ED00A0 00D25D2F
	v_cmp_u_f32_e64 s[48:49], v162, v162                       // 000000005570: D0480030 000345A2
	v_add3_u32 v40, v162, v43, 1                               // 000000005578: D1FF0028 020657A2
	v_cndmask_b32_e64 v46, v40, v42, s[48:49]                  // 000000005580: D100002E 00C25528
	v_cmp_u_f32_e64 s[48:49], v163, v163                       // 000000005588: D0480030 000347A3
	v_add3_u32 v40, v163, v43, 1                               // 000000005590: D1FF0028 020657A3
	v_cndmask_b32_e64 v47, v40, v42, s[48:49]                  // 000000005598: D100002F 00C25528
	v_perm_b32 v161, v47, v46, s52                             // 0000000055A0: D1ED00A1 00D25D2F
	v_cmp_u_f32_e64 s[48:49], v164, v164                       // 0000000055A8: D0480030 000349A4
	v_add3_u32 v40, v164, v43, 1                               // 0000000055B0: D1FF0028 020657A4
	v_cndmask_b32_e64 v46, v40, v42, s[48:49]                  // 0000000055B8: D100002E 00C25528
	v_cmp_u_f32_e64 s[48:49], v165, v165                       // 0000000055C0: D0480030 00034BA5
	v_add3_u32 v40, v165, v43, 1                               // 0000000055C8: D1FF0028 020657A5
	v_cndmask_b32_e64 v47, v40, v42, s[48:49]                  // 0000000055D0: D100002F 00C25528
	v_perm_b32 v162, v47, v46, s52                             // 0000000055D8: D1ED00A2 00D25D2F
	v_cmp_u_f32_e64 s[48:49], v166, v166                       // 0000000055E0: D0480030 00034DA6
	v_add3_u32 v40, v166, v43, 1                               // 0000000055E8: D1FF0028 020657A6
	v_cndmask_b32_e64 v46, v40, v42, s[48:49]                  // 0000000055F0: D100002E 00C25528
	v_cmp_u_f32_e64 s[48:49], v167, v167                       // 0000000055F8: D0480030 00034FA7
	v_add3_u32 v40, v167, v43, 1                               // 000000005600: D1FF0028 020657A7
	v_cndmask_b32_e64 v47, v40, v42, s[48:49]                  // 000000005608: D100002F 00C25528
	v_perm_b32 v163, v47, v46, s52                             // 000000005610: D1ED00A3 00D25D2F
	v_cmp_u_f32_e64 s[48:49], v168, v168                       // 000000005618: D0480030 000351A8
	v_add3_u32 v40, v168, v43, 1                               // 000000005620: D1FF0028 020657A8
	v_cndmask_b32_e64 v46, v40, v42, s[48:49]                  // 000000005628: D100002E 00C25528
	v_cmp_u_f32_e64 s[48:49], v169, v169                       // 000000005630: D0480030 000353A9
	v_add3_u32 v40, v169, v43, 1                               // 000000005638: D1FF0028 020657A9
	v_cndmask_b32_e64 v47, v40, v42, s[48:49]                  // 000000005640: D100002F 00C25528
	v_perm_b32 v164, v47, v46, s52                             // 000000005648: D1ED00A4 00D25D2F
	v_cmp_u_f32_e64 s[48:49], v170, v170                       // 000000005650: D0480030 000355AA
	v_add3_u32 v40, v170, v43, 1                               // 000000005658: D1FF0028 020657AA
	v_cndmask_b32_e64 v46, v40, v42, s[48:49]                  // 000000005660: D100002E 00C25528
	v_cmp_u_f32_e64 s[48:49], v171, v171                       // 000000005668: D0480030 000357AB
	v_add3_u32 v40, v171, v43, 1                               // 000000005670: D1FF0028 020657AB
	v_cndmask_b32_e64 v47, v40, v42, s[48:49]                  // 000000005678: D100002F 00C25528
	v_perm_b32 v165, v47, v46, s52                             // 000000005680: D1ED00A5 00D25D2F
	v_cmp_u_f32_e64 s[48:49], v172, v172                       // 000000005688: D0480030 000359AC
	v_add3_u32 v40, v172, v43, 1                               // 000000005690: D1FF0028 020657AC
	v_cndmask_b32_e64 v46, v40, v42, s[48:49]                  // 000000005698: D100002E 00C25528
	v_cmp_u_f32_e64 s[48:49], v173, v173                       // 0000000056A0: D0480030 00035BAD
	v_add3_u32 v40, v173, v43, 1                               // 0000000056A8: D1FF0028 020657AD
	v_cndmask_b32_e64 v47, v40, v42, s[48:49]                  // 0000000056B0: D100002F 00C25528
	v_perm_b32 v166, v47, v46, s52                             // 0000000056B8: D1ED00A6 00D25D2F
	v_cmp_u_f32_e64 s[48:49], v174, v174                       // 0000000056C0: D0480030 00035DAE
	v_add3_u32 v40, v174, v43, 1                               // 0000000056C8: D1FF0028 020657AE
	v_cndmask_b32_e64 v46, v40, v42, s[48:49]                  // 0000000056D0: D100002E 00C25528
	v_cmp_u_f32_e64 s[48:49], v175, v175                       // 0000000056D8: D0480030 00035FAF
	v_add3_u32 v40, v175, v43, 1                               // 0000000056E0: D1FF0028 020657AF
	v_cndmask_b32_e64 v47, v40, v42, s[48:49]                  // 0000000056E8: D100002F 00C25528
	v_perm_b32 v167, v47, v46, s52                             // 0000000056F0: D1ED00A7 00D25D2F
	v_cmp_u_f32_e64 s[48:49], v176, v176                       // 0000000056F8: D0480030 000361B0
	v_add3_u32 v40, v176, v43, 1                               // 000000005700: D1FF0028 020657B0
	v_cndmask_b32_e64 v46, v40, v42, s[48:49]                  // 000000005708: D100002E 00C25528
	v_cmp_u_f32_e64 s[48:49], v177, v177                       // 000000005710: D0480030 000363B1
	v_add3_u32 v40, v177, v43, 1                               // 000000005718: D1FF0028 020657B1
	v_cndmask_b32_e64 v47, v40, v42, s[48:49]                  // 000000005720: D100002F 00C25528
	v_perm_b32 v168, v47, v46, s52                             // 000000005728: D1ED00A8 00D25D2F
	v_cmp_u_f32_e64 s[48:49], v178, v178                       // 000000005730: D0480030 000365B2
	v_add3_u32 v40, v178, v43, 1                               // 000000005738: D1FF0028 020657B2
	v_cndmask_b32_e64 v46, v40, v42, s[48:49]                  // 000000005740: D100002E 00C25528
	v_cmp_u_f32_e64 s[48:49], v179, v179                       // 000000005748: D0480030 000367B3
	v_add3_u32 v40, v179, v43, 1                               // 000000005750: D1FF0028 020657B3
	v_cndmask_b32_e64 v47, v40, v42, s[48:49]                  // 000000005758: D100002F 00C25528
	v_perm_b32 v169, v47, v46, s52                             // 000000005760: D1ED00A9 00D25D2F
	v_cmp_u_f32_e64 s[48:49], v180, v180                       // 000000005768: D0480030 000369B4
	v_add3_u32 v40, v180, v43, 1                               // 000000005770: D1FF0028 020657B4
	v_cndmask_b32_e64 v46, v40, v42, s[48:49]                  // 000000005778: D100002E 00C25528
	v_cmp_u_f32_e64 s[48:49], v181, v181                       // 000000005780: D0480030 00036BB5
	v_add3_u32 v40, v181, v43, 1                               // 000000005788: D1FF0028 020657B5
	v_cndmask_b32_e64 v47, v40, v42, s[48:49]                  // 000000005790: D100002F 00C25528
	v_perm_b32 v170, v47, v46, s52                             // 000000005798: D1ED00AA 00D25D2F
	v_cmp_u_f32_e64 s[48:49], v182, v182                       // 0000000057A0: D0480030 00036DB6
	v_add3_u32 v40, v182, v43, 1                               // 0000000057A8: D1FF0028 020657B6
	v_cndmask_b32_e64 v46, v40, v42, s[48:49]                  // 0000000057B0: D100002E 00C25528
	v_cmp_u_f32_e64 s[48:49], v183, v183                       // 0000000057B8: D0480030 00036FB7
	v_add3_u32 v40, v183, v43, 1                               // 0000000057C0: D1FF0028 020657B7
	v_cndmask_b32_e64 v47, v40, v42, s[48:49]                  // 0000000057C8: D100002F 00C25528
	v_perm_b32 v171, v47, v46, s52                             // 0000000057D0: D1ED00AB 00D25D2F
	v_cmp_u_f32_e64 s[48:49], v184, v184                       // 0000000057D8: D0480030 000371B8
	v_add3_u32 v40, v184, v43, 1                               // 0000000057E0: D1FF0028 020657B8
	v_cndmask_b32_e64 v46, v40, v42, s[48:49]                  // 0000000057E8: D100002E 00C25528
	v_cmp_u_f32_e64 s[48:49], v185, v185                       // 0000000057F0: D0480030 000373B9
	v_add3_u32 v40, v185, v43, 1                               // 0000000057F8: D1FF0028 020657B9
	v_cndmask_b32_e64 v47, v40, v42, s[48:49]                  // 000000005800: D100002F 00C25528
	v_perm_b32 v172, v47, v46, s52                             // 000000005808: D1ED00AC 00D25D2F
	v_cmp_u_f32_e64 s[48:49], v186, v186                       // 000000005810: D0480030 000375BA
	v_add3_u32 v40, v186, v43, 1                               // 000000005818: D1FF0028 020657BA
	v_cndmask_b32_e64 v46, v40, v42, s[48:49]                  // 000000005820: D100002E 00C25528
	v_cmp_u_f32_e64 s[48:49], v187, v187                       // 000000005828: D0480030 000377BB
	v_add3_u32 v40, v187, v43, 1                               // 000000005830: D1FF0028 020657BB
	v_cndmask_b32_e64 v47, v40, v42, s[48:49]                  // 000000005838: D100002F 00C25528
	v_perm_b32 v173, v47, v46, s52                             // 000000005840: D1ED00AD 00D25D2F
	v_cmp_u_f32_e64 s[48:49], v188, v188                       // 000000005848: D0480030 000379BC
	v_add3_u32 v40, v188, v43, 1                               // 000000005850: D1FF0028 020657BC
	v_cndmask_b32_e64 v46, v40, v42, s[48:49]                  // 000000005858: D100002E 00C25528
	v_cmp_u_f32_e64 s[48:49], v189, v189                       // 000000005860: D0480030 00037BBD
	v_add3_u32 v40, v189, v43, 1                               // 000000005868: D1FF0028 020657BD
	v_cndmask_b32_e64 v47, v40, v42, s[48:49]                  // 000000005870: D100002F 00C25528
	v_perm_b32 v174, v47, v46, s52                             // 000000005878: D1ED00AE 00D25D2F
	v_cmp_u_f32_e64 s[48:49], v190, v190                       // 000000005880: D0480030 00037DBE
	v_add3_u32 v40, v190, v43, 1                               // 000000005888: D1FF0028 020657BE
	v_cndmask_b32_e64 v46, v40, v42, s[48:49]                  // 000000005890: D100002E 00C25528
	v_cmp_u_f32_e64 s[48:49], v191, v191                       // 000000005898: D0480030 00037FBF
	v_add3_u32 v40, v191, v43, 1                               // 0000000058A0: D1FF0028 020657BF
	v_cndmask_b32_e64 v47, v40, v42, s[48:49]                  // 0000000058A8: D100002F 00C25528
	v_perm_b32 v175, v47, v46, s52                             // 0000000058B0: D1ED00AF 00D25D2F
	ds_write_b64 v3, v[160:161] offset:26880                   // 0000000058B8: D89A6900 0000A003
	ds_write_b64 v3, v[162:163] offset:35584                   // 0000000058C0: D89A8B00 0000A203
	ds_write_b64 v3, v[164:165] offset:29056                   // 0000000058C8: D89A7180 0000A403
	ds_write_b64 v3, v[166:167] offset:37760                   // 0000000058D0: D89A9380 0000A603
	ds_write_b64 v3, v[168:169] offset:31232                   // 0000000058D8: D89A7A00 0000A803
	ds_write_b64 v3, v[170:171] offset:39936                   // 0000000058E0: D89A9C00 0000AA03
	ds_write_b64 v3, v[172:173] offset:33408                   // 0000000058E8: D89A8280 0000AC03
	ds_write_b64 v3, v[174:175] offset:42112                   // 0000000058F0: D89AA480 0000AE03
	s_waitcnt lgkmcnt(0)                                       // 0000000058F8: BF8CC07F
	s_barrier                                                  // 0000000058FC: BF8A0000
	ds_read_b32 v64, v4 offset:26880                           // 000000005900: D86C6900 40000004
	ds_read_b32 v65, v4 offset:31232                           // 000000005908: D86C7A00 41000004
	ds_read_b32 v66, v4 offset:26912                           // 000000005910: D86C6920 42000004
	ds_read_b32 v67, v4 offset:31264                           // 000000005918: D86C7A20 43000004
	ds_read_b32 v68, v4 offset:26944                           // 000000005920: D86C6940 44000004
	ds_read_b32 v69, v4 offset:31296                           // 000000005928: D86C7A40 45000004
	ds_read_b32 v70, v4 offset:26976                           // 000000005930: D86C6960 46000004
	ds_read_b32 v71, v4 offset:31328                           // 000000005938: D86C7A60 47000004
	ds_read_b32 v72, v4 offset:35584                           // 000000005940: D86C8B00 48000004
	ds_read_b32 v73, v4 offset:39936                           // 000000005948: D86C9C00 49000004
	ds_read_b32 v74, v4 offset:35616                           // 000000005950: D86C8B20 4A000004
	ds_read_b32 v75, v4 offset:39968                           // 000000005958: D86C9C20 4B000004
	ds_read_b32 v76, v4 offset:35648                           // 000000005960: D86C8B40 4C000004
	ds_read_b32 v77, v4 offset:40000                           // 000000005968: D86C9C40 4D000004
	ds_read_b32 v78, v4 offset:35680                           // 000000005970: D86C8B60 4E000004
	ds_read_b32 v79, v4 offset:40032                           // 000000005978: D86C9C60 4F000004
	s_waitcnt lgkmcnt(0)                                       // 000000005980: BF8CC07F
	s_mov_b64 exec, s[20:21]                                   // 000000005984: BEFE0114
	global_atomic_pk_add_bf16 v80, v64, s[8:9]                 // 000000005988: DD488000 00084050
	s_mov_b64 exec, s[36:37]                                   // 000000005990: BEFE0124
	s_mov_b64 exec, s[20:21]                                   // 000000005994: BEFE0114
	global_atomic_pk_add_bf16 v80, v65, s[8:9] offset:256      // 000000005998: DD488100 00084150
	s_mov_b64 exec, s[36:37]                                   // 0000000059A0: BEFE0124
	s_mov_b64 exec, s[22:23]                                   // 0000000059A4: BEFE0116
	global_atomic_pk_add_bf16 v82, v66, s[8:9]                 // 0000000059A8: DD488000 00084252
	s_mov_b64 exec, s[36:37]                                   // 0000000059B0: BEFE0124
	s_mov_b64 exec, s[22:23]                                   // 0000000059B4: BEFE0116
	global_atomic_pk_add_bf16 v82, v67, s[8:9] offset:256      // 0000000059B8: DD488100 00084352
	s_mov_b64 exec, s[36:37]                                   // 0000000059C0: BEFE0124
	s_mov_b64 exec, s[24:25]                                   // 0000000059C4: BEFE0118
	global_atomic_pk_add_bf16 v84, v68, s[8:9]                 // 0000000059C8: DD488000 00084454
	s_mov_b64 exec, s[36:37]                                   // 0000000059D0: BEFE0124
	s_mov_b64 exec, s[24:25]                                   // 0000000059D4: BEFE0118
	global_atomic_pk_add_bf16 v84, v69, s[8:9] offset:256      // 0000000059D8: DD488100 00084554
	s_mov_b64 exec, s[36:37]                                   // 0000000059E0: BEFE0124
	s_mov_b64 exec, s[26:27]                                   // 0000000059E4: BEFE011A
	global_atomic_pk_add_bf16 v86, v70, s[8:9]                 // 0000000059E8: DD488000 00084656
	s_mov_b64 exec, s[36:37]                                   // 0000000059F0: BEFE0124
	s_mov_b64 exec, s[26:27]                                   // 0000000059F4: BEFE011A
	global_atomic_pk_add_bf16 v86, v71, s[8:9] offset:256      // 0000000059F8: DD488100 00084756
	s_mov_b64 exec, s[36:37]                                   // 000000005A00: BEFE0124
	s_mov_b64 exec, s[28:29]                                   // 000000005A04: BEFE011C
	global_atomic_pk_add_bf16 v88, v72, s[8:9]                 // 000000005A08: DD488000 00084858
	s_mov_b64 exec, s[36:37]                                   // 000000005A10: BEFE0124
	s_mov_b64 exec, s[28:29]                                   // 000000005A14: BEFE011C
	global_atomic_pk_add_bf16 v88, v73, s[8:9] offset:256      // 000000005A18: DD488100 00084958
	s_mov_b64 exec, s[36:37]                                   // 000000005A20: BEFE0124
	s_mov_b64 exec, s[30:31]                                   // 000000005A24: BEFE011E
	global_atomic_pk_add_bf16 v90, v74, s[8:9]                 // 000000005A28: DD488000 00084A5A
	s_mov_b64 exec, s[36:37]                                   // 000000005A30: BEFE0124
	s_mov_b64 exec, s[30:31]                                   // 000000005A34: BEFE011E
	global_atomic_pk_add_bf16 v90, v75, s[8:9] offset:256      // 000000005A38: DD488100 00084B5A
	s_mov_b64 exec, s[36:37]                                   // 000000005A40: BEFE0124
	s_mov_b64 exec, s[32:33]                                   // 000000005A44: BEFE0120
	global_atomic_pk_add_bf16 v92, v76, s[8:9]                 // 000000005A48: DD488000 00084C5C
	s_mov_b64 exec, s[36:37]                                   // 000000005A50: BEFE0124
	s_mov_b64 exec, s[32:33]                                   // 000000005A54: BEFE0120
	global_atomic_pk_add_bf16 v92, v77, s[8:9] offset:256      // 000000005A58: DD488100 00084D5C
	s_mov_b64 exec, s[36:37]                                   // 000000005A60: BEFE0124
	s_mov_b64 exec, s[34:35]                                   // 000000005A64: BEFE0122
	global_atomic_pk_add_bf16 v94, v78, s[8:9]                 // 000000005A68: DD488000 00084E5E
	s_mov_b64 exec, s[36:37]                                   // 000000005A70: BEFE0124
	s_mov_b64 exec, s[34:35]                                   // 000000005A74: BEFE0122
	global_atomic_pk_add_bf16 v94, v79, s[8:9] offset:256      // 000000005A78: DD488100 00084F5E
	s_mov_b64 exec, s[36:37]                                   // 000000005A80: BEFE0124
	s_add_u32 s8, s59, s8                                      // 000000005A84: 8008083B
	s_addc_u32 s9, 0, s9                                       // 000000005A88: 82090980
	s_addk_i32 s80, 0x100                                      // 000000005A8C: B7500100
	s_cmp_lt_i32 s80, s81                                      // 000000005A90: BF045150
	s_cbranch_scc0 label_0D96                                  // 000000005A94: BF840270
	s_waitcnt vmcnt(29)                                        // 000000005A98: BF8C4F7D
	s_barrier                                                  // 000000005A9C: BF8A0000
	v_mfma_f32_16x16x32_fp8_fp8 v[192:195], a[64:65], v[128:129], 0// 000000005AA0: D3F300C0 0A030140
	v_mfma_f32_16x16x32_fp8_fp8 v[192:195], a[66:67], v[130:131], v[192:195]// 000000005AA8: D3F300C0 0F030542
	buffer_load_dwordx4 a[0:3], v36, s[12:15], 0 offen         // 000000005AB0: E05C1000 80830024
	v_mfma_f32_16x16x32_fp8_fp8 v[196:199], a[64:65], v[144:145], 0// 000000005AB8: D3F300C4 0A032140
	v_mfma_f32_16x16x32_fp8_fp8 v[196:199], a[66:67], v[146:147], v[196:199]// 000000005AC0: D3F300C4 0F132542
	v_mfma_f32_16x16x32_fp8_fp8 v[200:203], a[68:69], v[128:129], 0// 000000005AC8: D3F300C8 0A030144
	v_mfma_f32_16x16x32_fp8_fp8 v[200:203], a[70:71], v[130:131], v[200:203]// 000000005AD0: D3F300C8 0F230546
	buffer_load_dwordx4 a[4:7], v37, s[12:15], 0 offen         // 000000005AD8: E05C1000 80830425
	v_mfma_f32_16x16x32_fp8_fp8 v[204:207], a[68:69], v[144:145], 0// 000000005AE0: D3F300CC 0A032144
	v_mfma_f32_16x16x32_fp8_fp8 v[204:207], a[70:71], v[146:147], v[204:207]// 000000005AE8: D3F300CC 0F332546
	v_mfma_f32_16x16x32_fp8_fp8 v[208:211], a[72:73], v[128:129], 0// 000000005AF0: D3F300D0 0A030148
	v_mfma_f32_16x16x32_fp8_fp8 v[208:211], a[74:75], v[130:131], v[208:211]// 000000005AF8: D3F300D0 0F43054A
	buffer_load_dwordx4 a[8:11], v38, s[12:15], 0 offen        // 000000005B00: E05C1000 80830826
	v_mfma_f32_16x16x32_fp8_fp8 v[212:215], a[72:73], v[144:145], 0// 000000005B08: D3F300D4 0A032148
	v_mfma_f32_16x16x32_fp8_fp8 v[212:215], a[74:75], v[146:147], v[212:215]// 000000005B10: D3F300D4 0F53254A
	v_mfma_f32_16x16x32_fp8_fp8 v[216:219], a[76:77], v[128:129], 0// 000000005B18: D3F300D8 0A03014C
	v_mfma_f32_16x16x32_fp8_fp8 v[216:219], a[78:79], v[130:131], v[216:219]// 000000005B20: D3F300D8 0F63054E
	buffer_load_dwordx4 a[12:15], v39, s[12:15], 0 offen       // 000000005B28: E05C1000 80830C27
	s_add_u32 s12, s78, s12                                    // 000000005B30: 800C0C4E
	s_addc_u32 s13, 0, s13                                     // 000000005B34: 820D0D80
	v_mfma_f32_16x16x32_fp8_fp8 v[220:223], a[76:77], v[144:145], 0// 000000005B38: D3F300DC 0A03214C
	v_mfma_f32_16x16x32_fp8_fp8 v[220:223], a[78:79], v[146:147], v[220:223]// 000000005B40: D3F300DC 0F73254E
	s_waitcnt vmcnt(29)                                        // 000000005B48: BF8C4F7D
	v_mfma_f32_16x16x32_fp8_fp8 v[192:195], a[80:81], v[132:133], v[192:195]// 000000005B4C: D3F300C0 0F030950
	v_mfma_f32_16x16x32_fp8_fp8 v[192:195], a[82:83], v[134:135], v[192:195]// 000000005B54: D3F300C0 0F030D52
	buffer_load_dwordx4 a[16:19], v36, s[12:15], 0 offen       // 000000005B5C: E05C1000 80831024
	v_mfma_f32_16x16x32_fp8_fp8 v[196:199], a[80:81], v[148:149], v[196:199]// 000000005B64: D3F300C4 0F132950
	v_mfma_f32_16x16x32_fp8_fp8 v[196:199], a[82:83], v[150:151], v[196:199]// 000000005B6C: D3F300C4 0F132D52
	v_mfma_f32_16x16x32_fp8_fp8 v[200:203], a[84:85], v[132:133], v[200:203]// 000000005B74: D3F300C8 0F230954
	v_mfma_f32_16x16x32_fp8_fp8 v[200:203], a[86:87], v[134:135], v[200:203]// 000000005B7C: D3F300C8 0F230D56
	buffer_load_dwordx4 a[20:23], v37, s[12:15], 0 offen       // 000000005B84: E05C1000 80831425
	v_mfma_f32_16x16x32_fp8_fp8 v[204:207], a[84:85], v[148:149], v[204:207]// 000000005B8C: D3F300CC 0F332954
	v_mfma_f32_16x16x32_fp8_fp8 v[204:207], a[86:87], v[150:151], v[204:207]// 000000005B94: D3F300CC 0F332D56
	v_mfma_f32_16x16x32_fp8_fp8 v[208:211], a[88:89], v[132:133], v[208:211]// 000000005B9C: D3F300D0 0F430958
	v_mfma_f32_16x16x32_fp8_fp8 v[208:211], a[90:91], v[134:135], v[208:211]// 000000005BA4: D3F300D0 0F430D5A
	buffer_load_dwordx4 a[24:27], v38, s[12:15], 0 offen       // 000000005BAC: E05C1000 80831826
	v_mfma_f32_16x16x32_fp8_fp8 v[212:215], a[88:89], v[148:149], v[212:215]// 000000005BB4: D3F300D4 0F532958
	v_mfma_f32_16x16x32_fp8_fp8 v[212:215], a[90:91], v[150:151], v[212:215]// 000000005BBC: D3F300D4 0F532D5A
	v_mfma_f32_16x16x32_fp8_fp8 v[216:219], a[92:93], v[132:133], v[216:219]// 000000005BC4: D3F300D8 0F63095C
	v_mfma_f32_16x16x32_fp8_fp8 v[216:219], a[94:95], v[134:135], v[216:219]// 000000005BCC: D3F300D8 0F630D5E
	buffer_load_dwordx4 a[28:31], v39, s[12:15], 0 offen       // 000000005BD4: E05C1000 80831C27
	s_add_u32 s12, s78, s12                                    // 000000005BDC: 800C0C4E
	s_addc_u32 s13, 0, s13                                     // 000000005BE0: 820D0D80
	v_mfma_f32_16x16x32_fp8_fp8 v[220:223], a[92:93], v[148:149], v[220:223]// 000000005BE4: D3F300DC 0F73295C
	v_mfma_f32_16x16x32_fp8_fp8 v[220:223], a[94:95], v[150:151], v[220:223]// 000000005BEC: D3F300DC 0F732D5E
	s_waitcnt vmcnt(29)                                        // 000000005BF4: BF8C4F7D
	v_mfma_f32_16x16x32_fp8_fp8 v[192:195], a[96:97], v[136:137], v[192:195]// 000000005BF8: D3F300C0 0F031160
	v_mfma_f32_16x16x32_fp8_fp8 v[192:195], a[98:99], v[138:139], v[192:195]// 000000005C00: D3F300C0 0F031562
	buffer_load_dwordx4 a[32:35], v36, s[12:15], 0 offen       // 000000005C08: E05C1000 80832024
	v_mfma_f32_16x16x32_fp8_fp8 v[196:199], a[96:97], v[152:153], v[196:199]// 000000005C10: D3F300C4 0F133160
	v_mfma_f32_16x16x32_fp8_fp8 v[196:199], a[98:99], v[154:155], v[196:199]// 000000005C18: D3F300C4 0F133562
	v_mfma_f32_16x16x32_fp8_fp8 v[200:203], a[100:101], v[136:137], v[200:203]// 000000005C20: D3F300C8 0F231164
	v_mfma_f32_16x16x32_fp8_fp8 v[200:203], a[102:103], v[138:139], v[200:203]// 000000005C28: D3F300C8 0F231566
	buffer_load_dwordx4 a[36:39], v37, s[12:15], 0 offen       // 000000005C30: E05C1000 80832425
	v_mfma_f32_16x16x32_fp8_fp8 v[204:207], a[100:101], v[152:153], v[204:207]// 000000005C38: D3F300CC 0F333164
	v_mfma_f32_16x16x32_fp8_fp8 v[204:207], a[102:103], v[154:155], v[204:207]// 000000005C40: D3F300CC 0F333566
	v_mfma_f32_16x16x32_fp8_fp8 v[208:211], a[104:105], v[136:137], v[208:211]// 000000005C48: D3F300D0 0F431168
	v_mfma_f32_16x16x32_fp8_fp8 v[208:211], a[106:107], v[138:139], v[208:211]// 000000005C50: D3F300D0 0F43156A
	buffer_load_dwordx4 a[40:43], v38, s[12:15], 0 offen       // 000000005C58: E05C1000 80832826
	v_mfma_f32_16x16x32_fp8_fp8 v[212:215], a[104:105], v[152:153], v[212:215]// 000000005C60: D3F300D4 0F533168
	v_mfma_f32_16x16x32_fp8_fp8 v[212:215], a[106:107], v[154:155], v[212:215]// 000000005C68: D3F300D4 0F53356A
	v_mfma_f32_16x16x32_fp8_fp8 v[216:219], a[108:109], v[136:137], v[216:219]// 000000005C70: D3F300D8 0F63116C
	v_mfma_f32_16x16x32_fp8_fp8 v[216:219], a[110:111], v[138:139], v[216:219]// 000000005C78: D3F300D8 0F63156E
	buffer_load_dwordx4 a[44:47], v39, s[12:15], 0 offen       // 000000005C80: E05C1000 80832C27
	s_add_u32 s12, s78, s12                                    // 000000005C88: 800C0C4E
	s_addc_u32 s13, 0, s13                                     // 000000005C8C: 820D0D80
	v_mfma_f32_16x16x32_fp8_fp8 v[220:223], a[108:109], v[152:153], v[220:223]// 000000005C90: D3F300DC 0F73316C
	v_mfma_f32_16x16x32_fp8_fp8 v[220:223], a[110:111], v[154:155], v[220:223]// 000000005C98: D3F300DC 0F73356E
	s_waitcnt vmcnt(28)                                        // 000000005CA0: BF8C4F7C
	v_mfma_f32_16x16x32_fp8_fp8 v[192:195], a[112:113], v[140:141], v[192:195]// 000000005CA4: D3F300C0 0F031970
	v_mfma_f32_16x16x32_fp8_fp8 v[192:195], a[114:115], v[142:143], v[192:195]// 000000005CAC: D3F300C0 0F031D72
	buffer_load_dwordx4 a[48:51], v36, s[12:15], 0 offen       // 000000005CB4: E05C1000 80833024
	v_mfma_f32_16x16x32_fp8_fp8 v[196:199], a[112:113], v[156:157], v[196:199]// 000000005CBC: D3F300C4 0F133970
	v_mfma_f32_16x16x32_fp8_fp8 v[196:199], a[114:115], v[158:159], v[196:199]// 000000005CC4: D3F300C4 0F133D72
	buffer_load_dword v11, v5, s[16:19], 0 offen               // 000000005CCC: E0501000 80040B05
	v_mfma_f32_16x16x32_fp8_fp8 v[200:203], a[116:117], v[140:141], v[200:203]// 000000005CD4: D3F300C8 0F231974
	v_mfma_f32_16x16x32_fp8_fp8 v[200:203], a[118:119], v[142:143], v[200:203]// 000000005CDC: D3F300C8 0F231D76
	buffer_load_dwordx4 a[52:55], v37, s[12:15], 0 offen       // 000000005CE4: E05C1000 80833425
	v_mfma_f32_16x16x32_fp8_fp8 v[204:207], a[116:117], v[156:157], v[204:207]// 000000005CEC: D3F300CC 0F333974
	v_mfma_f32_16x16x32_fp8_fp8 v[204:207], a[118:119], v[158:159], v[204:207]// 000000005CF4: D3F300CC 0F333D76
	v_mfma_f32_16x16x32_fp8_fp8 v[208:211], a[120:121], v[140:141], v[208:211]// 000000005CFC: D3F300D0 0F431978
	v_mfma_f32_16x16x32_fp8_fp8 v[208:211], a[122:123], v[142:143], v[208:211]// 000000005D04: D3F300D0 0F431D7A
	buffer_load_dwordx4 a[56:59], v38, s[12:15], 0 offen       // 000000005D0C: E05C1000 80833826
	v_mfma_f32_16x16x32_fp8_fp8 v[212:215], a[120:121], v[156:157], v[212:215]// 000000005D14: D3F300D4 0F533978
	v_mfma_f32_16x16x32_fp8_fp8 v[212:215], a[122:123], v[158:159], v[212:215]// 000000005D1C: D3F300D4 0F533D7A
	v_mfma_f32_16x16x32_fp8_fp8 v[216:219], a[124:125], v[140:141], v[216:219]// 000000005D24: D3F300D8 0F63197C
	v_mfma_f32_16x16x32_fp8_fp8 v[216:219], a[126:127], v[142:143], v[216:219]// 000000005D2C: D3F300D8 0F631D7E
	buffer_load_dwordx4 a[60:63], v39, s[12:15], 0 offen       // 000000005D34: E05C1000 80833C27
	v_mfma_f32_16x16x32_fp8_fp8 v[220:223], a[124:125], v[156:157], v[220:223]// 000000005D3C: D3F300DC 0F73397C
	v_mfma_f32_16x16x32_fp8_fp8 v[220:223], a[126:127], v[158:159], v[220:223]// 000000005D44: D3F300DC 0F733D7E
	s_add_u32 s60, 0x200, s80                                  // 000000005D4C: 803C50FF 00000200
	s_cmp_lt_u32 s60, s81                                      // 000000005D54: BF0A513C
	s_cselect_b32 s56, s56, 0                                  // 000000005D58: 85388038
	s_cselect_b32 s78, s78, 0                                  // 000000005D5C: 854E804E
	s_cselect_b32 s79, s79, 0                                  // 000000005D60: 854F804F
	s_add_u32 s12, s56, s12                                    // 000000005D64: 800C0C38
	s_addc_u32 s13, 0, s13                                     // 000000005D68: 820D0D80
	s_add_u32 s16, s79, s16                                    // 000000005D6C: 8010104F
	s_addc_u32 s17, 0, s17                                     // 000000005D70: 82111180
	v_mul_f32_e32 v192, v22, v192                              // 000000005D74: 0B818116
	v_mul_f32_e32 v193, v22, v193                              // 000000005D78: 0B838316
	v_mul_f32_e32 v194, v22, v194                              // 000000005D7C: 0B858516
	v_mul_f32_e32 v195, v22, v195                              // 000000005D80: 0B878716
	v_mul_f32_dpp v192, v12, v192 row_newbcast:0 row_mask:0xf bank_mask:0xf// 000000005D84: 0B8180FA FF01500C
	v_mul_f32_dpp v193, v12, v193 row_newbcast:1 row_mask:0xf bank_mask:0xf// 000000005D8C: 0B8382FA FF01510C
	v_mul_f32_dpp v194, v12, v194 row_newbcast:2 row_mask:0xf bank_mask:0xf// 000000005D94: 0B8584FA FF01520C
	v_mul_f32_dpp v195, v12, v195 row_newbcast:3 row_mask:0xf bank_mask:0xf// 000000005D9C: 0B8786FA FF01530C
	v_mul_f32_e32 v196, v23, v196                              // 000000005DA4: 0B898917
	v_mul_f32_e32 v197, v23, v197                              // 000000005DA8: 0B8B8B17
	v_mul_f32_e32 v198, v23, v198                              // 000000005DAC: 0B8D8D17
	v_mul_f32_e32 v199, v23, v199                              // 000000005DB0: 0B8F8F17
	v_mul_f32_dpp v196, v12, v196 row_newbcast:0 row_mask:0xf bank_mask:0xf// 000000005DB4: 0B8988FA FF01500C
	v_mul_f32_dpp v197, v12, v197 row_newbcast:1 row_mask:0xf bank_mask:0xf// 000000005DBC: 0B8B8AFA FF01510C
	v_mul_f32_dpp v198, v12, v198 row_newbcast:2 row_mask:0xf bank_mask:0xf// 000000005DC4: 0B8D8CFA FF01520C
	v_mul_f32_dpp v199, v12, v199 row_newbcast:3 row_mask:0xf bank_mask:0xf// 000000005DCC: 0B8F8EFA FF01530C
	v_mul_f32_e32 v200, v22, v200                              // 000000005DD4: 0B919116
	v_mul_f32_e32 v201, v22, v201                              // 000000005DD8: 0B939316
	v_mul_f32_e32 v202, v22, v202                              // 000000005DDC: 0B959516
	v_mul_f32_e32 v203, v22, v203                              // 000000005DE0: 0B979716
	v_mul_f32_dpp v200, v12, v200 row_newbcast:4 row_mask:0xf bank_mask:0xf// 000000005DE4: 0B9190FA FF01540C
	v_mul_f32_dpp v201, v12, v201 row_newbcast:5 row_mask:0xf bank_mask:0xf// 000000005DEC: 0B9392FA FF01550C
	v_mul_f32_dpp v202, v12, v202 row_newbcast:6 row_mask:0xf bank_mask:0xf// 000000005DF4: 0B9594FA FF01560C
	v_mul_f32_dpp v203, v12, v203 row_newbcast:7 row_mask:0xf bank_mask:0xf// 000000005DFC: 0B9796FA FF01570C
	v_mul_f32_e32 v204, v23, v204                              // 000000005E04: 0B999917
	v_mul_f32_e32 v205, v23, v205                              // 000000005E08: 0B9B9B17
	v_mul_f32_e32 v206, v23, v206                              // 000000005E0C: 0B9D9D17
	v_mul_f32_e32 v207, v23, v207                              // 000000005E10: 0B9F9F17
	v_mul_f32_dpp v204, v12, v204 row_newbcast:4 row_mask:0xf bank_mask:0xf// 000000005E14: 0B9998FA FF01540C
	v_mul_f32_dpp v205, v12, v205 row_newbcast:5 row_mask:0xf bank_mask:0xf// 000000005E1C: 0B9B9AFA FF01550C
	v_mul_f32_dpp v206, v12, v206 row_newbcast:6 row_mask:0xf bank_mask:0xf// 000000005E24: 0B9D9CFA FF01560C
	v_mul_f32_dpp v207, v12, v207 row_newbcast:7 row_mask:0xf bank_mask:0xf// 000000005E2C: 0B9F9EFA FF01570C
	v_mul_f32_e32 v208, v22, v208                              // 000000005E34: 0BA1A116
	v_mul_f32_e32 v209, v22, v209                              // 000000005E38: 0BA3A316
	v_mul_f32_e32 v210, v22, v210                              // 000000005E3C: 0BA5A516
	v_mul_f32_e32 v211, v22, v211                              // 000000005E40: 0BA7A716
	v_mul_f32_dpp v208, v12, v208 row_newbcast:8 row_mask:0xf bank_mask:0xf// 000000005E44: 0BA1A0FA FF01580C
	v_mul_f32_dpp v209, v12, v209 row_newbcast:9 row_mask:0xf bank_mask:0xf// 000000005E4C: 0BA3A2FA FF01590C
	v_mul_f32_dpp v210, v12, v210 row_newbcast:10 row_mask:0xf bank_mask:0xf// 000000005E54: 0BA5A4FA FF015A0C
	v_mul_f32_dpp v211, v12, v211 row_newbcast:11 row_mask:0xf bank_mask:0xf// 000000005E5C: 0BA7A6FA FF015B0C
	v_mul_f32_e32 v212, v23, v212                              // 000000005E64: 0BA9A917
	v_mul_f32_e32 v213, v23, v213                              // 000000005E68: 0BABAB17
	v_mul_f32_e32 v214, v23, v214                              // 000000005E6C: 0BADAD17
	v_mul_f32_e32 v215, v23, v215                              // 000000005E70: 0BAFAF17
	v_mul_f32_dpp v212, v12, v212 row_newbcast:8 row_mask:0xf bank_mask:0xf// 000000005E74: 0BA9A8FA FF01580C
	v_mul_f32_dpp v213, v12, v213 row_newbcast:9 row_mask:0xf bank_mask:0xf// 000000005E7C: 0BABAAFA FF01590C
	v_mul_f32_dpp v214, v12, v214 row_newbcast:10 row_mask:0xf bank_mask:0xf// 000000005E84: 0BADACFA FF015A0C
	v_mul_f32_dpp v215, v12, v215 row_newbcast:11 row_mask:0xf bank_mask:0xf// 000000005E8C: 0BAFAEFA FF015B0C
	v_mul_f32_e32 v216, v22, v216                              // 000000005E94: 0BB1B116
	v_mul_f32_e32 v217, v22, v217                              // 000000005E98: 0BB3B316
	v_mul_f32_e32 v218, v22, v218                              // 000000005E9C: 0BB5B516
	v_mul_f32_e32 v219, v22, v219                              // 000000005EA0: 0BB7B716
	v_mul_f32_dpp v216, v12, v216 row_newbcast:12 row_mask:0xf bank_mask:0xf// 000000005EA4: 0BB1B0FA FF015C0C
	v_mul_f32_dpp v217, v12, v217 row_newbcast:13 row_mask:0xf bank_mask:0xf// 000000005EAC: 0BB3B2FA FF015D0C
	v_mul_f32_dpp v218, v12, v218 row_newbcast:14 row_mask:0xf bank_mask:0xf// 000000005EB4: 0BB5B4FA FF015E0C
	v_mul_f32_dpp v219, v12, v219 row_newbcast:15 row_mask:0xf bank_mask:0xf// 000000005EBC: 0BB7B6FA FF015F0C
	v_mul_f32_e32 v220, v23, v220                              // 000000005EC4: 0BB9B917
	v_mul_f32_e32 v221, v23, v221                              // 000000005EC8: 0BBBBB17
	v_mul_f32_e32 v222, v23, v222                              // 000000005ECC: 0BBDBD17
	v_mul_f32_e32 v223, v23, v223                              // 000000005ED0: 0BBFBF17
	v_mul_f32_dpp v220, v12, v220 row_newbcast:12 row_mask:0xf bank_mask:0xf// 000000005ED4: 0BB9B8FA FF015C0C
	v_mul_f32_dpp v221, v12, v221 row_newbcast:13 row_mask:0xf bank_mask:0xf// 000000005EDC: 0BBBBAFA FF015D0C
	v_mul_f32_dpp v222, v12, v222 row_newbcast:14 row_mask:0xf bank_mask:0xf// 000000005EE4: 0BBDBCFA FF015E0C
	v_mul_f32_dpp v223, v12, v223 row_newbcast:15 row_mask:0xf bank_mask:0xf// 000000005EEC: 0BBFBEFA FF015F0C
	v_cmp_u_f32_e64 s[48:49], v192, v192                       // 000000005EF4: D0480030 000381C0
	v_add3_u32 v40, v192, v43, 1                               // 000000005EFC: D1FF0028 020657C0
	v_cndmask_b32_e64 v46, v40, v42, s[48:49]                  // 000000005F04: D100002E 00C25528
	v_cmp_u_f32_e64 s[48:49], v193, v193                       // 000000005F0C: D0480030 000383C1
	v_add3_u32 v40, v193, v43, 1                               // 000000005F14: D1FF0028 020657C1
	v_cndmask_b32_e64 v47, v40, v42, s[48:49]                  // 000000005F1C: D100002F 00C25528
	v_perm_b32 v192, v47, v46, s52                             // 000000005F24: D1ED00C0 00D25D2F
	v_cmp_u_f32_e64 s[48:49], v194, v194                       // 000000005F2C: D0480030 000385C2
	v_add3_u32 v40, v194, v43, 1                               // 000000005F34: D1FF0028 020657C2
	v_cndmask_b32_e64 v46, v40, v42, s[48:49]                  // 000000005F3C: D100002E 00C25528
	v_cmp_u_f32_e64 s[48:49], v195, v195                       // 000000005F44: D0480030 000387C3
	v_add3_u32 v40, v195, v43, 1                               // 000000005F4C: D1FF0028 020657C3
	v_cndmask_b32_e64 v47, v40, v42, s[48:49]                  // 000000005F54: D100002F 00C25528
	v_perm_b32 v193, v47, v46, s52                             // 000000005F5C: D1ED00C1 00D25D2F
	v_cmp_u_f32_e64 s[48:49], v196, v196                       // 000000005F64: D0480030 000389C4
	v_add3_u32 v40, v196, v43, 1                               // 000000005F6C: D1FF0028 020657C4
	v_cndmask_b32_e64 v46, v40, v42, s[48:49]                  // 000000005F74: D100002E 00C25528
	v_cmp_u_f32_e64 s[48:49], v197, v197                       // 000000005F7C: D0480030 00038BC5
	v_add3_u32 v40, v197, v43, 1                               // 000000005F84: D1FF0028 020657C5
	v_cndmask_b32_e64 v47, v40, v42, s[48:49]                  // 000000005F8C: D100002F 00C25528
	v_perm_b32 v194, v47, v46, s52                             // 000000005F94: D1ED00C2 00D25D2F
	v_cmp_u_f32_e64 s[48:49], v198, v198                       // 000000005F9C: D0480030 00038DC6
	v_add3_u32 v40, v198, v43, 1                               // 000000005FA4: D1FF0028 020657C6
	v_cndmask_b32_e64 v46, v40, v42, s[48:49]                  // 000000005FAC: D100002E 00C25528
	v_cmp_u_f32_e64 s[48:49], v199, v199                       // 000000005FB4: D0480030 00038FC7
	v_add3_u32 v40, v199, v43, 1                               // 000000005FBC: D1FF0028 020657C7
	v_cndmask_b32_e64 v47, v40, v42, s[48:49]                  // 000000005FC4: D100002F 00C25528
	v_perm_b32 v195, v47, v46, s52                             // 000000005FCC: D1ED00C3 00D25D2F
	v_cmp_u_f32_e64 s[48:49], v200, v200                       // 000000005FD4: D0480030 000391C8
	v_add3_u32 v40, v200, v43, 1                               // 000000005FDC: D1FF0028 020657C8
	v_cndmask_b32_e64 v46, v40, v42, s[48:49]                  // 000000005FE4: D100002E 00C25528
	v_cmp_u_f32_e64 s[48:49], v201, v201                       // 000000005FEC: D0480030 000393C9
	v_add3_u32 v40, v201, v43, 1                               // 000000005FF4: D1FF0028 020657C9
	v_cndmask_b32_e64 v47, v40, v42, s[48:49]                  // 000000005FFC: D100002F 00C25528
	v_perm_b32 v196, v47, v46, s52                             // 000000006004: D1ED00C4 00D25D2F
	v_cmp_u_f32_e64 s[48:49], v202, v202                       // 00000000600C: D0480030 000395CA
	v_add3_u32 v40, v202, v43, 1                               // 000000006014: D1FF0028 020657CA
	v_cndmask_b32_e64 v46, v40, v42, s[48:49]                  // 00000000601C: D100002E 00C25528
	v_cmp_u_f32_e64 s[48:49], v203, v203                       // 000000006024: D0480030 000397CB
	v_add3_u32 v40, v203, v43, 1                               // 00000000602C: D1FF0028 020657CB
	v_cndmask_b32_e64 v47, v40, v42, s[48:49]                  // 000000006034: D100002F 00C25528
	v_perm_b32 v197, v47, v46, s52                             // 00000000603C: D1ED00C5 00D25D2F
	v_cmp_u_f32_e64 s[48:49], v204, v204                       // 000000006044: D0480030 000399CC
	v_add3_u32 v40, v204, v43, 1                               // 00000000604C: D1FF0028 020657CC
	v_cndmask_b32_e64 v46, v40, v42, s[48:49]                  // 000000006054: D100002E 00C25528
	v_cmp_u_f32_e64 s[48:49], v205, v205                       // 00000000605C: D0480030 00039BCD
	v_add3_u32 v40, v205, v43, 1                               // 000000006064: D1FF0028 020657CD
	v_cndmask_b32_e64 v47, v40, v42, s[48:49]                  // 00000000606C: D100002F 00C25528
	v_perm_b32 v198, v47, v46, s52                             // 000000006074: D1ED00C6 00D25D2F
	v_cmp_u_f32_e64 s[48:49], v206, v206                       // 00000000607C: D0480030 00039DCE
	v_add3_u32 v40, v206, v43, 1                               // 000000006084: D1FF0028 020657CE
	v_cndmask_b32_e64 v46, v40, v42, s[48:49]                  // 00000000608C: D100002E 00C25528
	v_cmp_u_f32_e64 s[48:49], v207, v207                       // 000000006094: D0480030 00039FCF
	v_add3_u32 v40, v207, v43, 1                               // 00000000609C: D1FF0028 020657CF
	v_cndmask_b32_e64 v47, v40, v42, s[48:49]                  // 0000000060A4: D100002F 00C25528
	v_perm_b32 v199, v47, v46, s52                             // 0000000060AC: D1ED00C7 00D25D2F
	v_cmp_u_f32_e64 s[48:49], v208, v208                       // 0000000060B4: D0480030 0003A1D0
	v_add3_u32 v40, v208, v43, 1                               // 0000000060BC: D1FF0028 020657D0
	v_cndmask_b32_e64 v46, v40, v42, s[48:49]                  // 0000000060C4: D100002E 00C25528
	v_cmp_u_f32_e64 s[48:49], v209, v209                       // 0000000060CC: D0480030 0003A3D1
	v_add3_u32 v40, v209, v43, 1                               // 0000000060D4: D1FF0028 020657D1
	v_cndmask_b32_e64 v47, v40, v42, s[48:49]                  // 0000000060DC: D100002F 00C25528
	v_perm_b32 v200, v47, v46, s52                             // 0000000060E4: D1ED00C8 00D25D2F
	v_cmp_u_f32_e64 s[48:49], v210, v210                       // 0000000060EC: D0480030 0003A5D2
	v_add3_u32 v40, v210, v43, 1                               // 0000000060F4: D1FF0028 020657D2
	v_cndmask_b32_e64 v46, v40, v42, s[48:49]                  // 0000000060FC: D100002E 00C25528
	v_cmp_u_f32_e64 s[48:49], v211, v211                       // 000000006104: D0480030 0003A7D3
	v_add3_u32 v40, v211, v43, 1                               // 00000000610C: D1FF0028 020657D3
	v_cndmask_b32_e64 v47, v40, v42, s[48:49]                  // 000000006114: D100002F 00C25528
	v_perm_b32 v201, v47, v46, s52                             // 00000000611C: D1ED00C9 00D25D2F
	v_cmp_u_f32_e64 s[48:49], v212, v212                       // 000000006124: D0480030 0003A9D4
	v_add3_u32 v40, v212, v43, 1                               // 00000000612C: D1FF0028 020657D4
	v_cndmask_b32_e64 v46, v40, v42, s[48:49]                  // 000000006134: D100002E 00C25528
	v_cmp_u_f32_e64 s[48:49], v213, v213                       // 00000000613C: D0480030 0003ABD5
	v_add3_u32 v40, v213, v43, 1                               // 000000006144: D1FF0028 020657D5
	v_cndmask_b32_e64 v47, v40, v42, s[48:49]                  // 00000000614C: D100002F 00C25528
	v_perm_b32 v202, v47, v46, s52                             // 000000006154: D1ED00CA 00D25D2F
	v_cmp_u_f32_e64 s[48:49], v214, v214                       // 00000000615C: D0480030 0003ADD6
	v_add3_u32 v40, v214, v43, 1                               // 000000006164: D1FF0028 020657D6
	v_cndmask_b32_e64 v46, v40, v42, s[48:49]                  // 00000000616C: D100002E 00C25528
	v_cmp_u_f32_e64 s[48:49], v215, v215                       // 000000006174: D0480030 0003AFD7
	v_add3_u32 v40, v215, v43, 1                               // 00000000617C: D1FF0028 020657D7
	v_cndmask_b32_e64 v47, v40, v42, s[48:49]                  // 000000006184: D100002F 00C25528
	v_perm_b32 v203, v47, v46, s52                             // 00000000618C: D1ED00CB 00D25D2F
	v_cmp_u_f32_e64 s[48:49], v216, v216                       // 000000006194: D0480030 0003B1D8
	v_add3_u32 v40, v216, v43, 1                               // 00000000619C: D1FF0028 020657D8
	v_cndmask_b32_e64 v46, v40, v42, s[48:49]                  // 0000000061A4: D100002E 00C25528
	v_cmp_u_f32_e64 s[48:49], v217, v217                       // 0000000061AC: D0480030 0003B3D9
	v_add3_u32 v40, v217, v43, 1                               // 0000000061B4: D1FF0028 020657D9
	v_cndmask_b32_e64 v47, v40, v42, s[48:49]                  // 0000000061BC: D100002F 00C25528
	v_perm_b32 v204, v47, v46, s52                             // 0000000061C4: D1ED00CC 00D25D2F
	v_cmp_u_f32_e64 s[48:49], v218, v218                       // 0000000061CC: D0480030 0003B5DA
	v_add3_u32 v40, v218, v43, 1                               // 0000000061D4: D1FF0028 020657DA
	v_cndmask_b32_e64 v46, v40, v42, s[48:49]                  // 0000000061DC: D100002E 00C25528
	v_cmp_u_f32_e64 s[48:49], v219, v219                       // 0000000061E4: D0480030 0003B7DB
	v_add3_u32 v40, v219, v43, 1                               // 0000000061EC: D1FF0028 020657DB
	v_cndmask_b32_e64 v47, v40, v42, s[48:49]                  // 0000000061F4: D100002F 00C25528
	v_perm_b32 v205, v47, v46, s52                             // 0000000061FC: D1ED00CD 00D25D2F
	v_cmp_u_f32_e64 s[48:49], v220, v220                       // 000000006204: D0480030 0003B9DC
	v_add3_u32 v40, v220, v43, 1                               // 00000000620C: D1FF0028 020657DC
	v_cndmask_b32_e64 v46, v40, v42, s[48:49]                  // 000000006214: D100002E 00C25528
	v_cmp_u_f32_e64 s[48:49], v221, v221                       // 00000000621C: D0480030 0003BBDD
	v_add3_u32 v40, v221, v43, 1                               // 000000006224: D1FF0028 020657DD
	v_cndmask_b32_e64 v47, v40, v42, s[48:49]                  // 00000000622C: D100002F 00C25528
	v_perm_b32 v206, v47, v46, s52                             // 000000006234: D1ED00CE 00D25D2F
	v_cmp_u_f32_e64 s[48:49], v222, v222                       // 00000000623C: D0480030 0003BDDE
	v_add3_u32 v40, v222, v43, 1                               // 000000006244: D1FF0028 020657DE
	v_cndmask_b32_e64 v46, v40, v42, s[48:49]                  // 00000000624C: D100002E 00C25528
	v_cmp_u_f32_e64 s[48:49], v223, v223                       // 000000006254: D0480030 0003BFDF
	v_add3_u32 v40, v223, v43, 1                               // 00000000625C: D1FF0028 020657DF
	v_cndmask_b32_e64 v47, v40, v42, s[48:49]                  // 000000006264: D100002F 00C25528
	v_perm_b32 v207, v47, v46, s52                             // 00000000626C: D1ED00CF 00D25D2F
	ds_write_b64 v3, v[192:193] offset:26880                   // 000000006274: D89A6900 0000C003
	ds_write_b64 v3, v[194:195] offset:35584                   // 00000000627C: D89A8B00 0000C203
	ds_write_b64 v3, v[196:197] offset:29056                   // 000000006284: D89A7180 0000C403
	ds_write_b64 v3, v[198:199] offset:37760                   // 00000000628C: D89A9380 0000C603
	ds_write_b64 v3, v[200:201] offset:31232                   // 000000006294: D89A7A00 0000C803
	ds_write_b64 v3, v[202:203] offset:39936                   // 00000000629C: D89A9C00 0000CA03
	ds_write_b64 v3, v[204:205] offset:33408                   // 0000000062A4: D89A8280 0000CC03
	ds_write_b64 v3, v[206:207] offset:42112                   // 0000000062AC: D89AA480 0000CE03
	s_waitcnt lgkmcnt(0)                                       // 0000000062B4: BF8CC07F
	s_barrier                                                  // 0000000062B8: BF8A0000
	ds_read_b32 v64, v4 offset:26880                           // 0000000062BC: D86C6900 40000004
	ds_read_b32 v65, v4 offset:31232                           // 0000000062C4: D86C7A00 41000004
	ds_read_b32 v66, v4 offset:26912                           // 0000000062CC: D86C6920 42000004
	ds_read_b32 v67, v4 offset:31264                           // 0000000062D4: D86C7A20 43000004
	ds_read_b32 v68, v4 offset:26944                           // 0000000062DC: D86C6940 44000004
	ds_read_b32 v69, v4 offset:31296                           // 0000000062E4: D86C7A40 45000004
	ds_read_b32 v70, v4 offset:26976                           // 0000000062EC: D86C6960 46000004
	ds_read_b32 v71, v4 offset:31328                           // 0000000062F4: D86C7A60 47000004
	ds_read_b32 v72, v4 offset:35584                           // 0000000062FC: D86C8B00 48000004
	ds_read_b32 v73, v4 offset:39936                           // 000000006304: D86C9C00 49000004
	ds_read_b32 v74, v4 offset:35616                           // 00000000630C: D86C8B20 4A000004
	ds_read_b32 v75, v4 offset:39968                           // 000000006314: D86C9C20 4B000004
	ds_read_b32 v76, v4 offset:35648                           // 00000000631C: D86C8B40 4C000004
	ds_read_b32 v77, v4 offset:40000                           // 000000006324: D86C9C40 4D000004
	ds_read_b32 v78, v4 offset:35680                           // 00000000632C: D86C8B60 4E000004
	ds_read_b32 v79, v4 offset:40032                           // 000000006334: D86C9C60 4F000004
	s_waitcnt lgkmcnt(0)                                       // 00000000633C: BF8CC07F
	s_mov_b64 exec, s[20:21]                                   // 000000006340: BEFE0114
	global_atomic_pk_add_bf16 v80, v64, s[8:9]                 // 000000006344: DD488000 00084050
	s_mov_b64 exec, s[36:37]                                   // 00000000634C: BEFE0124
	s_mov_b64 exec, s[20:21]                                   // 000000006350: BEFE0114
	global_atomic_pk_add_bf16 v80, v65, s[8:9] offset:256      // 000000006354: DD488100 00084150
	s_mov_b64 exec, s[36:37]                                   // 00000000635C: BEFE0124
	s_mov_b64 exec, s[22:23]                                   // 000000006360: BEFE0116
	global_atomic_pk_add_bf16 v82, v66, s[8:9]                 // 000000006364: DD488000 00084252
	s_mov_b64 exec, s[36:37]                                   // 00000000636C: BEFE0124
	s_mov_b64 exec, s[22:23]                                   // 000000006370: BEFE0116
	global_atomic_pk_add_bf16 v82, v67, s[8:9] offset:256      // 000000006374: DD488100 00084352
	s_mov_b64 exec, s[36:37]                                   // 00000000637C: BEFE0124
	s_mov_b64 exec, s[24:25]                                   // 000000006380: BEFE0118
	global_atomic_pk_add_bf16 v84, v68, s[8:9]                 // 000000006384: DD488000 00084454
	s_mov_b64 exec, s[36:37]                                   // 00000000638C: BEFE0124
	s_mov_b64 exec, s[24:25]                                   // 000000006390: BEFE0118
	global_atomic_pk_add_bf16 v84, v69, s[8:9] offset:256      // 000000006394: DD488100 00084554
	s_mov_b64 exec, s[36:37]                                   // 00000000639C: BEFE0124
	s_mov_b64 exec, s[26:27]                                   // 0000000063A0: BEFE011A
	global_atomic_pk_add_bf16 v86, v70, s[8:9]                 // 0000000063A4: DD488000 00084656
	s_mov_b64 exec, s[36:37]                                   // 0000000063AC: BEFE0124
	s_mov_b64 exec, s[26:27]                                   // 0000000063B0: BEFE011A
	global_atomic_pk_add_bf16 v86, v71, s[8:9] offset:256      // 0000000063B4: DD488100 00084756
	s_mov_b64 exec, s[36:37]                                   // 0000000063BC: BEFE0124
	s_mov_b64 exec, s[28:29]                                   // 0000000063C0: BEFE011C
	global_atomic_pk_add_bf16 v88, v72, s[8:9]                 // 0000000063C4: DD488000 00084858
	s_mov_b64 exec, s[36:37]                                   // 0000000063CC: BEFE0124
	s_mov_b64 exec, s[28:29]                                   // 0000000063D0: BEFE011C
	global_atomic_pk_add_bf16 v88, v73, s[8:9] offset:256      // 0000000063D4: DD488100 00084958
	s_mov_b64 exec, s[36:37]                                   // 0000000063DC: BEFE0124
	s_mov_b64 exec, s[30:31]                                   // 0000000063E0: BEFE011E
	global_atomic_pk_add_bf16 v90, v74, s[8:9]                 // 0000000063E4: DD488000 00084A5A
	s_mov_b64 exec, s[36:37]                                   // 0000000063EC: BEFE0124
	s_mov_b64 exec, s[30:31]                                   // 0000000063F0: BEFE011E
	global_atomic_pk_add_bf16 v90, v75, s[8:9] offset:256      // 0000000063F4: DD488100 00084B5A
	s_mov_b64 exec, s[36:37]                                   // 0000000063FC: BEFE0124
	s_mov_b64 exec, s[32:33]                                   // 000000006400: BEFE0120
	global_atomic_pk_add_bf16 v92, v76, s[8:9]                 // 000000006404: DD488000 00084C5C
	s_mov_b64 exec, s[36:37]                                   // 00000000640C: BEFE0124
	s_mov_b64 exec, s[32:33]                                   // 000000006410: BEFE0120
	global_atomic_pk_add_bf16 v92, v77, s[8:9] offset:256      // 000000006414: DD488100 00084D5C
	s_mov_b64 exec, s[36:37]                                   // 00000000641C: BEFE0124
	s_mov_b64 exec, s[34:35]                                   // 000000006420: BEFE0122
	global_atomic_pk_add_bf16 v94, v78, s[8:9]                 // 000000006424: DD488000 00084E5E
	s_mov_b64 exec, s[36:37]                                   // 00000000642C: BEFE0124
	s_mov_b64 exec, s[34:35]                                   // 000000006430: BEFE0122
	global_atomic_pk_add_bf16 v94, v79, s[8:9] offset:256      // 000000006434: DD488100 00084F5E
	s_mov_b64 exec, s[36:37]                                   // 00000000643C: BEFE0124
	s_add_u32 s8, s59, s8                                      // 000000006440: 8008083B
	s_addc_u32 s9, 0, s9                                       // 000000006444: 82090980
	s_addk_i32 s80, 0x100                                      // 000000006448: B7500100
	s_cmp_lt_i32 s80, s81                                      // 00000000644C: BF045150
	s_cbranch_scc0 label_0D96                                  // 000000006450: BF840001
	s_branch label_08B7                                        // 000000006454: BF82FB21

0000000000006458 <label_0D96>:
	s_nop 0                                                    // 000000006458: BF800000
	s_nop 0                                                    // 00000000645C: BF800000
	s_branch label_18EB                                        // 000000006460: BF820B52

0000000000006464 <label_0D99>:
	s_waitcnt vmcnt(8) lgkmcnt(0)                              // 000000006464: BF8C0078
	s_barrier                                                  // 000000006468: BF8A0000
	v_mfma_f32_16x16x32_fp8_fp8 v[128:131], a[0:1], v[160:161], v[128:131]// 00000000646C: D3F30080 0E034100
	buffer_load_dwordx4 a[64:67], v32, s[92:95], 0 offen       // 000000006474: E05C1000 80974020
	v_mfma_f32_16x16x32_fp8_fp8 v[128:131], a[2:3], v[162:163], v[128:131]// 00000000647C: D3F30080 0E034502
	v_mfma_f32_16x16x32_fp8_fp8 v[128:131], a[4:5], v[164:165], v[128:131]// 000000006484: D3F30080 0E034904
	buffer_load_dword v24, s[20:23], 0 offen lds               // 00000000648C: E0511000 80050018
	s_add_u32 m0, 0x100, s51                                   // 000000006494: 807C33FF 00000100
	v_mfma_f32_16x16x32_fp8_fp8 v[128:131], a[6:7], v[166:167], v[128:131]// 00000000649C: D3F30080 0E034D06
	v_mfma_f32_16x16x32_fp8_fp8 v[128:131], a[8:9], v[168:169], v[128:131]// 0000000064A4: D3F30080 0E035108
	buffer_load_dwordx4 a[68:71], v32, s[92:95], 0 offen offset:1024// 0000000064AC: E05C1400 80974420
	v_mfma_f32_16x16x32_fp8_fp8 v[128:131], a[10:11], v[170:171], v[128:131]// 0000000064B4: D3F30080 0E03550A
	v_mfma_f32_16x16x32_fp8_fp8 v[128:131], a[12:13], v[172:173], v[128:131]// 0000000064BC: D3F30080 0E03590C
	buffer_load_dword v25, s[20:23], 0 offen lds               // 0000000064C4: E0511000 80050019
	s_add_u32 m0, 0x200, s51                                   // 0000000064CC: 807C33FF 00000200
	v_mfma_f32_16x16x32_fp8_fp8 v[128:131], a[14:15], v[174:175], v[128:131]// 0000000064D4: D3F30080 0E035D0E
	v_mfma_f32_16x16x32_fp8_fp8 v[132:135], a[0:1], v[176:177], v[132:135]// 0000000064DC: D3F30084 0E136100
	buffer_load_dwordx4 a[72:75], v32, s[92:95], 0 offen offset:2048// 0000000064E4: E05C1800 80974820
	v_mfma_f32_16x16x32_fp8_fp8 v[132:135], a[2:3], v[178:179], v[132:135]// 0000000064EC: D3F30084 0E136502
	v_mfma_f32_16x16x32_fp8_fp8 v[132:135], a[4:5], v[180:181], v[132:135]// 0000000064F4: D3F30084 0E136904
	buffer_load_dword v26, s[20:23], 0 offen lds               // 0000000064FC: E0511000 8005001A
	s_add_u32 m0, 0x300, s51                                   // 000000006504: 807C33FF 00000300
	v_mfma_f32_16x16x32_fp8_fp8 v[132:135], a[6:7], v[182:183], v[132:135]// 00000000650C: D3F30084 0E136D06
	v_mfma_f32_16x16x32_fp8_fp8 v[132:135], a[8:9], v[184:185], v[132:135]// 000000006514: D3F30084 0E137108
	buffer_load_dwordx4 a[76:79], v32, s[92:95], 0 offen offset:3072// 00000000651C: E05C1C00 80974C20
	v_mfma_f32_16x16x32_fp8_fp8 v[132:135], a[10:11], v[186:187], v[132:135]// 000000006524: D3F30084 0E13750A
	v_mfma_f32_16x16x32_fp8_fp8 v[132:135], a[12:13], v[188:189], v[132:135]// 00000000652C: D3F30084 0E13790C
	buffer_load_dword v27, s[20:23], 0 offen lds               // 000000006534: E0511000 8005001B
	s_add_u32 m0, 0x400, s51                                   // 00000000653C: 807C33FF 00000400
	v_mfma_f32_16x16x32_fp8_fp8 v[132:135], a[14:15], v[190:191], v[132:135]// 000000006544: D3F30084 0E137D0E
	v_mfma_f32_16x16x32_fp8_fp8 v[136:139], a[16:17], v[160:161], v[136:139]// 00000000654C: D3F30088 0E234110
	buffer_load_dwordx4 a[80:83], v33, s[92:95], 0 offen       // 000000006554: E05C1000 80975021
	v_mfma_f32_16x16x32_fp8_fp8 v[136:139], a[18:19], v[162:163], v[136:139]// 00000000655C: D3F30088 0E234512
	v_mfma_f32_16x16x32_fp8_fp8 v[136:139], a[20:21], v[164:165], v[136:139]// 000000006564: D3F30088 0E234914
	buffer_load_dword v28, s[20:23], 0 offen lds               // 00000000656C: E0511000 8005001C
	s_add_u32 m0, 0x500, s51                                   // 000000006574: 807C33FF 00000500
	v_mfma_f32_16x16x32_fp8_fp8 v[136:139], a[22:23], v[166:167], v[136:139]// 00000000657C: D3F30088 0E234D16
	v_mfma_f32_16x16x32_fp8_fp8 v[136:139], a[24:25], v[168:169], v[136:139]// 000000006584: D3F30088 0E235118
	buffer_load_dwordx4 a[84:87], v33, s[92:95], 0 offen offset:1024// 00000000658C: E05C1400 80975421
	v_mfma_f32_16x16x32_fp8_fp8 v[136:139], a[26:27], v[170:171], v[136:139]// 000000006594: D3F30088 0E23551A
	v_mfma_f32_16x16x32_fp8_fp8 v[136:139], a[28:29], v[172:173], v[136:139]// 00000000659C: D3F30088 0E23591C
	buffer_load_dword v29, s[20:23], 0 offen lds               // 0000000065A4: E0511000 8005001D
	s_add_u32 m0, 0x600, s51                                   // 0000000065AC: 807C33FF 00000600
	v_mfma_f32_16x16x32_fp8_fp8 v[136:139], a[30:31], v[174:175], v[136:139]// 0000000065B4: D3F30088 0E235D1E
	v_mfma_f32_16x16x32_fp8_fp8 v[140:143], a[16:17], v[176:177], v[140:143]// 0000000065BC: D3F3008C 0E336110
	buffer_load_dwordx4 a[88:91], v33, s[92:95], 0 offen offset:2048// 0000000065C4: E05C1800 80975821
	v_mfma_f32_16x16x32_fp8_fp8 v[140:143], a[18:19], v[178:179], v[140:143]// 0000000065CC: D3F3008C 0E336512
	v_mfma_f32_16x16x32_fp8_fp8 v[140:143], a[20:21], v[180:181], v[140:143]// 0000000065D4: D3F3008C 0E336914
	buffer_load_dword v30, s[20:23], 0 offen lds               // 0000000065DC: E0511000 8005001E
	s_add_u32 m0, 0x700, s51                                   // 0000000065E4: 807C33FF 00000700
	v_mfma_f32_16x16x32_fp8_fp8 v[140:143], a[22:23], v[182:183], v[140:143]// 0000000065EC: D3F3008C 0E336D16
	v_mfma_f32_16x16x32_fp8_fp8 v[140:143], a[24:25], v[184:185], v[140:143]// 0000000065F4: D3F3008C 0E337118
	buffer_load_dwordx4 a[92:95], v33, s[92:95], 0 offen offset:3072// 0000000065FC: E05C1C00 80975C21
	v_mfma_f32_16x16x32_fp8_fp8 v[140:143], a[26:27], v[186:187], v[140:143]// 000000006604: D3F3008C 0E33751A
	v_mfma_f32_16x16x32_fp8_fp8 v[140:143], a[28:29], v[188:189], v[140:143]// 00000000660C: D3F3008C 0E33791C
	buffer_load_dword v31, s[20:23], 0 offen lds               // 000000006614: E0511000 8005001F
	s_add_u32 m0, 0, s50                                       // 00000000661C: 807C3280
	v_mfma_f32_16x16x32_fp8_fp8 v[140:143], a[30:31], v[190:191], v[140:143]// 000000006620: D3F3008C 0E337D1E
	s_waitcnt vmcnt(20)                                        // 000000006628: BF8C4F74
	v_mfma_f32_16x16x32_fp8_fp8 v[144:147], a[32:33], v[160:161], v[144:147]// 00000000662C: D3F30090 0E434120
	buffer_load_dwordx4 a[96:99], v34, s[92:95], 0 offen       // 000000006634: E05C1000 80976022
	v_mfma_f32_16x16x32_fp8_fp8 v[144:147], a[34:35], v[162:163], v[144:147]// 00000000663C: D3F30090 0E434522
	v_mfma_f32_16x16x32_fp8_fp8 v[144:147], a[36:37], v[164:165], v[144:147]// 000000006644: D3F30090 0E434924
	v_mfma_f32_16x16x32_fp8_fp8 v[144:147], a[38:39], v[166:167], v[144:147]// 00000000664C: D3F30090 0E434D26
	v_mfma_f32_16x16x32_fp8_fp8 v[144:147], a[40:41], v[168:169], v[144:147]// 000000006654: D3F30090 0E435128
	buffer_load_dwordx4 a[100:103], v34, s[92:95], 0 offen offset:1024// 00000000665C: E05C1400 80976422
	v_mfma_f32_16x16x32_fp8_fp8 v[144:147], a[42:43], v[170:171], v[144:147]// 000000006664: D3F30090 0E43552A
	v_mfma_f32_16x16x32_fp8_fp8 v[144:147], a[44:45], v[172:173], v[144:147]// 00000000666C: D3F30090 0E43592C
	v_mfma_f32_16x16x32_fp8_fp8 v[144:147], a[46:47], v[174:175], v[144:147]// 000000006674: D3F30090 0E435D2E
	v_mfma_f32_16x16x32_fp8_fp8 v[148:151], a[32:33], v[176:177], v[148:151]// 00000000667C: D3F30094 0E536120
	buffer_load_dwordx4 a[104:107], v34, s[92:95], 0 offen offset:2048// 000000006684: E05C1800 80976822
	v_mfma_f32_16x16x32_fp8_fp8 v[148:151], a[34:35], v[178:179], v[148:151]// 00000000668C: D3F30094 0E536522
	v_mfma_f32_16x16x32_fp8_fp8 v[148:151], a[36:37], v[180:181], v[148:151]// 000000006694: D3F30094 0E536924
	v_mfma_f32_16x16x32_fp8_fp8 v[148:151], a[38:39], v[182:183], v[148:151]// 00000000669C: D3F30094 0E536D26
	v_mfma_f32_16x16x32_fp8_fp8 v[148:151], a[40:41], v[184:185], v[148:151]// 0000000066A4: D3F30094 0E537128
	buffer_load_dwordx4 a[108:111], v34, s[92:95], 0 offen offset:3072// 0000000066AC: E05C1C00 80976C22
	v_mfma_f32_16x16x32_fp8_fp8 v[148:151], a[42:43], v[186:187], v[148:151]// 0000000066B4: D3F30094 0E53752A
	v_mfma_f32_16x16x32_fp8_fp8 v[148:151], a[44:45], v[188:189], v[148:151]// 0000000066BC: D3F30094 0E53792C
	v_mfma_f32_16x16x32_fp8_fp8 v[148:151], a[46:47], v[190:191], v[148:151]// 0000000066C4: D3F30094 0E537D2E
	s_waitcnt vmcnt(20)                                        // 0000000066CC: BF8C4F74
	v_mfma_f32_16x16x32_fp8_fp8 v[152:155], a[48:49], v[160:161], v[152:155]// 0000000066D0: D3F30098 0E634130
	buffer_load_dwordx4 a[112:115], v35, s[92:95], 0 offen     // 0000000066D8: E05C1000 80977023
	v_mfma_f32_16x16x32_fp8_fp8 v[152:155], a[50:51], v[162:163], v[152:155]// 0000000066E0: D3F30098 0E634532
	v_mfma_f32_16x16x32_fp8_fp8 v[152:155], a[52:53], v[164:165], v[152:155]// 0000000066E8: D3F30098 0E634934
	v_mfma_f32_16x16x32_fp8_fp8 v[152:155], a[54:55], v[166:167], v[152:155]// 0000000066F0: D3F30098 0E634D36
	v_mfma_f32_16x16x32_fp8_fp8 v[152:155], a[56:57], v[168:169], v[152:155]// 0000000066F8: D3F30098 0E635138
	buffer_load_dwordx4 a[116:119], v35, s[92:95], 0 offen offset:1024// 000000006700: E05C1400 80977423
	v_mfma_f32_16x16x32_fp8_fp8 v[152:155], a[58:59], v[170:171], v[152:155]// 000000006708: D3F30098 0E63553A
	v_mfma_f32_16x16x32_fp8_fp8 v[152:155], a[60:61], v[172:173], v[152:155]// 000000006710: D3F30098 0E63593C
	v_mfma_f32_16x16x32_fp8_fp8 v[152:155], a[62:63], v[174:175], v[152:155]// 000000006718: D3F30098 0E635D3E
	v_mfma_f32_16x16x32_fp8_fp8 v[156:159], a[48:49], v[176:177], v[156:159]// 000000006720: D3F3009C 0E736130
	buffer_load_dwordx4 a[120:123], v35, s[92:95], 0 offen offset:2048// 000000006728: E05C1800 80977823
	v_mfma_f32_16x16x32_fp8_fp8 v[156:159], a[50:51], v[178:179], v[156:159]// 000000006730: D3F3009C 0E736532
	v_mfma_f32_16x16x32_fp8_fp8 v[156:159], a[52:53], v[180:181], v[156:159]// 000000006738: D3F3009C 0E736934
	v_mfma_f32_16x16x32_fp8_fp8 v[156:159], a[54:55], v[182:183], v[156:159]// 000000006740: D3F3009C 0E736D36
	v_mfma_f32_16x16x32_fp8_fp8 v[156:159], a[56:57], v[184:185], v[156:159]// 000000006748: D3F3009C 0E737138
	buffer_load_dwordx4 a[124:127], v35, s[92:95], 0 offen offset:3072// 000000006750: E05C1C00 80977C23
	v_mfma_f32_16x16x32_fp8_fp8 v[156:159], a[58:59], v[186:187], v[156:159]// 000000006758: D3F3009C 0E73753A
	v_mfma_f32_16x16x32_fp8_fp8 v[156:159], a[60:61], v[188:189], v[156:159]// 000000006760: D3F3009C 0E73793C
	v_mfma_f32_16x16x32_fp8_fp8 v[156:159], a[62:63], v[190:191], v[156:159]// 000000006768: D3F3009C 0E737D3E
	s_waitcnt vmcnt(8)                                         // 000000006770: BF8C0F78
	s_barrier                                                  // 000000006774: BF8A0000
	v_mfma_f32_16x16x32_fp8_fp8 v[64:67], a[64:65], v[160:161], v[64:67]// 000000006778: D3F30040 0D034140
	buffer_load_dwordx4 a[0:3], v32, s[24:27], 0 offen         // 000000006780: E05C1000 80860020
	v_mfma_f32_16x16x32_fp8_fp8 v[64:67], a[66:67], v[162:163], v[64:67]// 000000006788: D3F30040 0D034542
	v_mfma_f32_16x16x32_fp8_fp8 v[64:67], a[68:69], v[164:165], v[64:67]// 000000006790: D3F30040 0D034944
	v_mfma_f32_16x16x32_fp8_fp8 v[64:67], a[70:71], v[166:167], v[64:67]// 000000006798: D3F30040 0D034D46
	v_mfma_f32_16x16x32_fp8_fp8 v[64:67], a[72:73], v[168:169], v[64:67]// 0000000067A0: D3F30040 0D035148
	buffer_load_dwordx4 a[4:7], v32, s[24:27], 0 offen offset:1024// 0000000067A8: E05C1400 80860420
	v_mfma_f32_16x16x32_fp8_fp8 v[64:67], a[74:75], v[170:171], v[64:67]// 0000000067B0: D3F30040 0D03554A
	v_mfma_f32_16x16x32_fp8_fp8 v[64:67], a[76:77], v[172:173], v[64:67]// 0000000067B8: D3F30040 0D03594C
	v_mfma_f32_16x16x32_fp8_fp8 v[64:67], a[78:79], v[174:175], v[64:67]// 0000000067C0: D3F30040 0D035D4E
	v_mfma_f32_16x16x32_fp8_fp8 v[68:71], a[64:65], v[176:177], v[68:71]// 0000000067C8: D3F30044 0D136140
	buffer_load_dwordx4 a[8:11], v32, s[24:27], 0 offen offset:2048// 0000000067D0: E05C1800 80860820
	v_mfma_f32_16x16x32_fp8_fp8 v[68:71], a[66:67], v[178:179], v[68:71]// 0000000067D8: D3F30044 0D136542
	v_mfma_f32_16x16x32_fp8_fp8 v[68:71], a[68:69], v[180:181], v[68:71]// 0000000067E0: D3F30044 0D136944
	v_mfma_f32_16x16x32_fp8_fp8 v[68:71], a[70:71], v[182:183], v[68:71]// 0000000067E8: D3F30044 0D136D46
	v_mfma_f32_16x16x32_fp8_fp8 v[68:71], a[72:73], v[184:185], v[68:71]// 0000000067F0: D3F30044 0D137148
	buffer_load_dwordx4 a[12:15], v32, s[24:27], 0 offen offset:3072// 0000000067F8: E05C1C00 80860C20
	v_mfma_f32_16x16x32_fp8_fp8 v[68:71], a[74:75], v[186:187], v[68:71]// 000000006800: D3F30044 0D13754A
	v_mfma_f32_16x16x32_fp8_fp8 v[68:71], a[76:77], v[188:189], v[68:71]// 000000006808: D3F30044 0D13794C
	v_mfma_f32_16x16x32_fp8_fp8 v[68:71], a[78:79], v[190:191], v[68:71]// 000000006810: D3F30044 0D137D4E
	v_mfma_f32_16x16x32_fp8_fp8 v[72:75], a[80:81], v[160:161], v[72:75]// 000000006818: D3F30048 0D234150
	buffer_load_dwordx4 a[16:19], v33, s[24:27], 0 offen       // 000000006820: E05C1000 80861021
	v_mfma_f32_16x16x32_fp8_fp8 v[72:75], a[82:83], v[162:163], v[72:75]// 000000006828: D3F30048 0D234552
	v_mfma_f32_16x16x32_fp8_fp8 v[72:75], a[84:85], v[164:165], v[72:75]// 000000006830: D3F30048 0D234954
	v_mfma_f32_16x16x32_fp8_fp8 v[72:75], a[86:87], v[166:167], v[72:75]// 000000006838: D3F30048 0D234D56
	v_mfma_f32_16x16x32_fp8_fp8 v[72:75], a[88:89], v[168:169], v[72:75]// 000000006840: D3F30048 0D235158
	buffer_load_dwordx4 a[20:23], v33, s[24:27], 0 offen offset:1024// 000000006848: E05C1400 80861421
	v_mfma_f32_16x16x32_fp8_fp8 v[72:75], a[90:91], v[170:171], v[72:75]// 000000006850: D3F30048 0D23555A
	v_mfma_f32_16x16x32_fp8_fp8 v[72:75], a[92:93], v[172:173], v[72:75]// 000000006858: D3F30048 0D23595C
	v_mfma_f32_16x16x32_fp8_fp8 v[72:75], a[94:95], v[174:175], v[72:75]// 000000006860: D3F30048 0D235D5E
	v_mfma_f32_16x16x32_fp8_fp8 v[76:79], a[80:81], v[176:177], v[76:79]// 000000006868: D3F3004C 0D336150
	buffer_load_dwordx4 a[24:27], v33, s[24:27], 0 offen offset:2048// 000000006870: E05C1800 80861821
	v_mfma_f32_16x16x32_fp8_fp8 v[76:79], a[82:83], v[178:179], v[76:79]// 000000006878: D3F3004C 0D336552
	v_mfma_f32_16x16x32_fp8_fp8 v[76:79], a[84:85], v[180:181], v[76:79]// 000000006880: D3F3004C 0D336954
	v_mfma_f32_16x16x32_fp8_fp8 v[76:79], a[86:87], v[182:183], v[76:79]// 000000006888: D3F3004C 0D336D56
	v_mfma_f32_16x16x32_fp8_fp8 v[76:79], a[88:89], v[184:185], v[76:79]// 000000006890: D3F3004C 0D337158
	buffer_load_dwordx4 a[28:31], v33, s[24:27], 0 offen offset:3072// 000000006898: E05C1C00 80861C21
	v_mfma_f32_16x16x32_fp8_fp8 v[76:79], a[90:91], v[186:187], v[76:79]// 0000000068A0: D3F3004C 0D33755A
	v_mfma_f32_16x16x32_fp8_fp8 v[76:79], a[92:93], v[188:189], v[76:79]// 0000000068A8: D3F3004C 0D33795C
	v_mfma_f32_16x16x32_fp8_fp8 v[76:79], a[94:95], v[190:191], v[76:79]// 0000000068B0: D3F3004C 0D337D5E
	s_waitcnt vmcnt(12)                                        // 0000000068B8: BF8C0F7C
	v_mfma_f32_16x16x32_fp8_fp8 v[80:83], a[96:97], v[160:161], v[80:83]// 0000000068BC: D3F30050 0D434160
	buffer_load_dwordx4 a[32:35], v34, s[24:27], 0 offen       // 0000000068C4: E05C1000 80862022
	v_mfma_f32_16x16x32_fp8_fp8 v[80:83], a[98:99], v[162:163], v[80:83]// 0000000068CC: D3F30050 0D434562
	v_mfma_f32_16x16x32_fp8_fp8 v[80:83], a[100:101], v[164:165], v[80:83]// 0000000068D4: D3F30050 0D434964
	ds_read_b128 v[192:195], v2 offset:8320                    // 0000000068DC: D9FE2080 C0000002
	v_mfma_f32_16x16x32_fp8_fp8 v[80:83], a[102:103], v[166:167], v[80:83]// 0000000068E4: D3F30050 0D434D66
	v_mfma_f32_16x16x32_fp8_fp8 v[80:83], a[104:105], v[168:169], v[80:83]// 0000000068EC: D3F30050 0D435168
	buffer_load_dwordx4 a[36:39], v34, s[24:27], 0 offen offset:1024// 0000000068F4: E05C1400 80862422
	v_mfma_f32_16x16x32_fp8_fp8 v[80:83], a[106:107], v[170:171], v[80:83]// 0000000068FC: D3F30050 0D43556A
	v_mfma_f32_16x16x32_fp8_fp8 v[80:83], a[108:109], v[172:173], v[80:83]// 000000006904: D3F30050 0D43596C
	ds_read_b128 v[196:199], v2 offset:8384                    // 00000000690C: D9FE20C0 C4000002
	v_mfma_f32_16x16x32_fp8_fp8 v[80:83], a[110:111], v[174:175], v[80:83]// 000000006914: D3F30050 0D435D6E
	v_mfma_f32_16x16x32_fp8_fp8 v[84:87], a[96:97], v[176:177], v[84:87]// 00000000691C: D3F30054 0D536160
	buffer_load_dwordx4 a[40:43], v34, s[24:27], 0 offen offset:2048// 000000006924: E05C1800 80862822
	v_mfma_f32_16x16x32_fp8_fp8 v[84:87], a[98:99], v[178:179], v[84:87]// 00000000692C: D3F30054 0D536562
	v_mfma_f32_16x16x32_fp8_fp8 v[84:87], a[100:101], v[180:181], v[84:87]// 000000006934: D3F30054 0D536964
	ds_read_b128 v[200:203], v2 offset:8448                    // 00000000693C: D9FE2100 C8000002
	v_mfma_f32_16x16x32_fp8_fp8 v[84:87], a[102:103], v[182:183], v[84:87]// 000000006944: D3F30054 0D536D66
	v_mfma_f32_16x16x32_fp8_fp8 v[84:87], a[104:105], v[184:185], v[84:87]// 00000000694C: D3F30054 0D537168
	buffer_load_dwordx4 a[44:47], v34, s[24:27], 0 offen offset:3072// 000000006954: E05C1C00 80862C22
	v_mfma_f32_16x16x32_fp8_fp8 v[84:87], a[106:107], v[186:187], v[84:87]// 00000000695C: D3F30054 0D53756A
	v_mfma_f32_16x16x32_fp8_fp8 v[84:87], a[108:109], v[188:189], v[84:87]// 000000006964: D3F30054 0D53796C
	ds_read_b128 v[204:207], v2 offset:8512                    // 00000000696C: D9FE2140 CC000002
	v_mfma_f32_16x16x32_fp8_fp8 v[84:87], a[110:111], v[190:191], v[84:87]// 000000006974: D3F30054 0D537D6E
	s_waitcnt vmcnt(12)                                        // 00000000697C: BF8C0F7C
	v_mfma_f32_16x16x32_fp8_fp8 v[88:91], a[112:113], v[160:161], v[88:91]// 000000006980: D3F30058 0D634170
	buffer_load_dwordx4 a[48:51], v35, s[24:27], 0 offen       // 000000006988: E05C1000 80863023
	v_mfma_f32_16x16x32_fp8_fp8 v[88:91], a[114:115], v[162:163], v[88:91]// 000000006990: D3F30058 0D634572
	v_mfma_f32_16x16x32_fp8_fp8 v[88:91], a[116:117], v[164:165], v[88:91]// 000000006998: D3F30058 0D634974
	ds_read_b128 v[208:211], v2 offset:9344                    // 0000000069A0: D9FE2480 D0000002
	v_mfma_f32_16x16x32_fp8_fp8 v[88:91], a[118:119], v[166:167], v[88:91]// 0000000069A8: D3F30058 0D634D76
	v_mfma_f32_16x16x32_fp8_fp8 v[88:91], a[120:121], v[168:169], v[88:91]// 0000000069B0: D3F30058 0D635178
	buffer_load_dwordx4 a[52:55], v35, s[24:27], 0 offen offset:1024// 0000000069B8: E05C1400 80863423
	v_mfma_f32_16x16x32_fp8_fp8 v[88:91], a[122:123], v[170:171], v[88:91]// 0000000069C0: D3F30058 0D63557A
	v_mfma_f32_16x16x32_fp8_fp8 v[88:91], a[124:125], v[172:173], v[88:91]// 0000000069C8: D3F30058 0D63597C
	ds_read_b128 v[212:215], v2 offset:9408                    // 0000000069D0: D9FE24C0 D4000002
	v_mfma_f32_16x16x32_fp8_fp8 v[88:91], a[126:127], v[174:175], v[88:91]// 0000000069D8: D3F30058 0D635D7E
	v_mfma_f32_16x16x32_fp8_fp8 v[92:95], a[112:113], v[176:177], v[92:95]// 0000000069E0: D3F3005C 0D736170
	buffer_load_dwordx4 a[56:59], v35, s[24:27], 0 offen offset:2048// 0000000069E8: E05C1800 80863823
	v_mfma_f32_16x16x32_fp8_fp8 v[92:95], a[114:115], v[178:179], v[92:95]// 0000000069F0: D3F3005C 0D736572
	v_mfma_f32_16x16x32_fp8_fp8 v[92:95], a[116:117], v[180:181], v[92:95]// 0000000069F8: D3F3005C 0D736974
	ds_read_b128 v[216:219], v2 offset:9472                    // 000000006A00: D9FE2500 D8000002
	v_mfma_f32_16x16x32_fp8_fp8 v[92:95], a[118:119], v[182:183], v[92:95]// 000000006A08: D3F3005C 0D736D76
	v_mfma_f32_16x16x32_fp8_fp8 v[92:95], a[120:121], v[184:185], v[92:95]// 000000006A10: D3F3005C 0D737178
	buffer_load_dwordx4 a[60:63], v35, s[24:27], 0 offen offset:3072// 000000006A18: E05C1C00 80863C23
	v_mfma_f32_16x16x32_fp8_fp8 v[92:95], a[122:123], v[186:187], v[92:95]// 000000006A20: D3F3005C 0D73757A
	v_mfma_f32_16x16x32_fp8_fp8 v[92:95], a[124:125], v[188:189], v[92:95]// 000000006A28: D3F3005C 0D73797C
	ds_read_b128 v[220:223], v2 offset:9536                    // 000000006A30: D9FE2540 DC000002
	v_mfma_f32_16x16x32_fp8_fp8 v[92:95], a[126:127], v[190:191], v[92:95]// 000000006A38: D3F3005C 0D737D7E
	s_add_u32 s60, 0x200, s80                                  // 000000006A40: 803C50FF 00000200
	s_cmp_lt_u32 s60, s81                                      // 000000006A48: BF0A513C
	s_cselect_b32 s57, s57, 0                                  // 000000006A4C: 85398039
	s_add_u32 s60, 0x200, s80                                  // 000000006A50: 803C50FF 00000200
	s_cmp_lt_u32 s60, s81                                      // 000000006A58: BF0A513C
	s_cselect_b32 s58, s58, 0                                  // 000000006A5C: 853A803A
	s_add_u32 s20, s57, s20                                    // 000000006A60: 80141439
	s_addc_u32 s21, 0, s21                                     // 000000006A64: 82151580
	s_add_u32 s24, s58, s24                                    // 000000006A68: 8018183A
	s_addc_u32 s25, 0, s25                                     // 000000006A6C: 82191980
	s_add_u32 s92, s90, s92                                    // 000000006A70: 805C5C5A
	s_addc_u32 s93, 0, s93                                     // 000000006A74: 825D5D80
	s_addk_i32 s80, 0x100                                      // 000000006A78: B7500100
	s_cmp_lt_i32 s80, s81                                      // 000000006A7C: BF045150
	s_cbranch_scc0 label_10AA                                  // 000000006A80: BF840189
	s_waitcnt vmcnt(8) lgkmcnt(0)                              // 000000006A84: BF8C0078
	s_barrier                                                  // 000000006A88: BF8A0000
	v_mfma_f32_16x16x32_fp8_fp8 v[128:131], a[0:1], v[192:193], v[128:131]// 000000006A8C: D3F30080 0E038100
	buffer_load_dwordx4 a[64:67], v32, s[92:95], 0 offen       // 000000006A94: E05C1000 80974020
	v_mfma_f32_16x16x32_fp8_fp8 v[128:131], a[2:3], v[194:195], v[128:131]// 000000006A9C: D3F30080 0E038502
	v_mfma_f32_16x16x32_fp8_fp8 v[128:131], a[4:5], v[196:197], v[128:131]// 000000006AA4: D3F30080 0E038904
	buffer_load_dword v24, s[20:23], 0 offen lds               // 000000006AAC: E0511000 80050018
	s_add_u32 m0, 0x100, s50                                   // 000000006AB4: 807C32FF 00000100
	v_mfma_f32_16x16x32_fp8_fp8 v[128:131], a[6:7], v[198:199], v[128:131]// 000000006ABC: D3F30080 0E038D06
	v_mfma_f32_16x16x32_fp8_fp8 v[128:131], a[8:9], v[200:201], v[128:131]// 000000006AC4: D3F30080 0E039108
	buffer_load_dwordx4 a[68:71], v32, s[92:95], 0 offen offset:1024// 000000006ACC: E05C1400 80974420
	v_mfma_f32_16x16x32_fp8_fp8 v[128:131], a[10:11], v[202:203], v[128:131]// 000000006AD4: D3F30080 0E03950A
	v_mfma_f32_16x16x32_fp8_fp8 v[128:131], a[12:13], v[204:205], v[128:131]// 000000006ADC: D3F30080 0E03990C
	buffer_load_dword v25, s[20:23], 0 offen lds               // 000000006AE4: E0511000 80050019
	s_add_u32 m0, 0x200, s50                                   // 000000006AEC: 807C32FF 00000200
	v_mfma_f32_16x16x32_fp8_fp8 v[128:131], a[14:15], v[206:207], v[128:131]// 000000006AF4: D3F30080 0E039D0E
	v_mfma_f32_16x16x32_fp8_fp8 v[132:135], a[0:1], v[208:209], v[132:135]// 000000006AFC: D3F30084 0E13A100
	buffer_load_dwordx4 a[72:75], v32, s[92:95], 0 offen offset:2048// 000000006B04: E05C1800 80974820
	v_mfma_f32_16x16x32_fp8_fp8 v[132:135], a[2:3], v[210:211], v[132:135]// 000000006B0C: D3F30084 0E13A502
	v_mfma_f32_16x16x32_fp8_fp8 v[132:135], a[4:5], v[212:213], v[132:135]// 000000006B14: D3F30084 0E13A904
	buffer_load_dword v26, s[20:23], 0 offen lds               // 000000006B1C: E0511000 8005001A
	s_add_u32 m0, 0x300, s50                                   // 000000006B24: 807C32FF 00000300
	v_mfma_f32_16x16x32_fp8_fp8 v[132:135], a[6:7], v[214:215], v[132:135]// 000000006B2C: D3F30084 0E13AD06
	v_mfma_f32_16x16x32_fp8_fp8 v[132:135], a[8:9], v[216:217], v[132:135]// 000000006B34: D3F30084 0E13B108
	buffer_load_dwordx4 a[76:79], v32, s[92:95], 0 offen offset:3072// 000000006B3C: E05C1C00 80974C20
	v_mfma_f32_16x16x32_fp8_fp8 v[132:135], a[10:11], v[218:219], v[132:135]// 000000006B44: D3F30084 0E13B50A
	v_mfma_f32_16x16x32_fp8_fp8 v[132:135], a[12:13], v[220:221], v[132:135]// 000000006B4C: D3F30084 0E13B90C
	buffer_load_dword v27, s[20:23], 0 offen lds               // 000000006B54: E0511000 8005001B
	s_add_u32 m0, 0x400, s50                                   // 000000006B5C: 807C32FF 00000400
	v_mfma_f32_16x16x32_fp8_fp8 v[132:135], a[14:15], v[222:223], v[132:135]// 000000006B64: D3F30084 0E13BD0E
	v_mfma_f32_16x16x32_fp8_fp8 v[136:139], a[16:17], v[192:193], v[136:139]// 000000006B6C: D3F30088 0E238110
	buffer_load_dwordx4 a[80:83], v33, s[92:95], 0 offen       // 000000006B74: E05C1000 80975021
	v_mfma_f32_16x16x32_fp8_fp8 v[136:139], a[18:19], v[194:195], v[136:139]// 000000006B7C: D3F30088 0E238512
	v_mfma_f32_16x16x32_fp8_fp8 v[136:139], a[20:21], v[196:197], v[136:139]// 000000006B84: D3F30088 0E238914
	buffer_load_dword v28, s[20:23], 0 offen lds               // 000000006B8C: E0511000 8005001C
	s_add_u32 m0, 0x500, s50                                   // 000000006B94: 807C32FF 00000500
	v_mfma_f32_16x16x32_fp8_fp8 v[136:139], a[22:23], v[198:199], v[136:139]// 000000006B9C: D3F30088 0E238D16
	v_mfma_f32_16x16x32_fp8_fp8 v[136:139], a[24:25], v[200:201], v[136:139]// 000000006BA4: D3F30088 0E239118
	buffer_load_dwordx4 a[84:87], v33, s[92:95], 0 offen offset:1024// 000000006BAC: E05C1400 80975421
	v_mfma_f32_16x16x32_fp8_fp8 v[136:139], a[26:27], v[202:203], v[136:139]// 000000006BB4: D3F30088 0E23951A
	v_mfma_f32_16x16x32_fp8_fp8 v[136:139], a[28:29], v[204:205], v[136:139]// 000000006BBC: D3F30088 0E23991C
	buffer_load_dword v29, s[20:23], 0 offen lds               // 000000006BC4: E0511000 8005001D
	s_add_u32 m0, 0x600, s50                                   // 000000006BCC: 807C32FF 00000600
	v_mfma_f32_16x16x32_fp8_fp8 v[136:139], a[30:31], v[206:207], v[136:139]// 000000006BD4: D3F30088 0E239D1E
	v_mfma_f32_16x16x32_fp8_fp8 v[140:143], a[16:17], v[208:209], v[140:143]// 000000006BDC: D3F3008C 0E33A110
	buffer_load_dwordx4 a[88:91], v33, s[92:95], 0 offen offset:2048// 000000006BE4: E05C1800 80975821
	v_mfma_f32_16x16x32_fp8_fp8 v[140:143], a[18:19], v[210:211], v[140:143]// 000000006BEC: D3F3008C 0E33A512
	v_mfma_f32_16x16x32_fp8_fp8 v[140:143], a[20:21], v[212:213], v[140:143]// 000000006BF4: D3F3008C 0E33A914
	buffer_load_dword v30, s[20:23], 0 offen lds               // 000000006BFC: E0511000 8005001E
	s_add_u32 m0, 0x700, s50                                   // 000000006C04: 807C32FF 00000700
	v_mfma_f32_16x16x32_fp8_fp8 v[140:143], a[22:23], v[214:215], v[140:143]// 000000006C0C: D3F3008C 0E33AD16
	v_mfma_f32_16x16x32_fp8_fp8 v[140:143], a[24:25], v[216:217], v[140:143]// 000000006C14: D3F3008C 0E33B118
	buffer_load_dwordx4 a[92:95], v33, s[92:95], 0 offen offset:3072// 000000006C1C: E05C1C00 80975C21
	v_mfma_f32_16x16x32_fp8_fp8 v[140:143], a[26:27], v[218:219], v[140:143]// 000000006C24: D3F3008C 0E33B51A
	v_mfma_f32_16x16x32_fp8_fp8 v[140:143], a[28:29], v[220:221], v[140:143]// 000000006C2C: D3F3008C 0E33B91C
	buffer_load_dword v31, s[20:23], 0 offen lds               // 000000006C34: E0511000 8005001F
	s_add_u32 m0, 0, s51                                       // 000000006C3C: 807C3380
	v_mfma_f32_16x16x32_fp8_fp8 v[140:143], a[30:31], v[222:223], v[140:143]// 000000006C40: D3F3008C 0E33BD1E
	s_waitcnt vmcnt(20)                                        // 000000006C48: BF8C4F74
	v_mfma_f32_16x16x32_fp8_fp8 v[144:147], a[32:33], v[192:193], v[144:147]// 000000006C4C: D3F30090 0E438120
	buffer_load_dwordx4 a[96:99], v34, s[92:95], 0 offen       // 000000006C54: E05C1000 80976022
	v_mfma_f32_16x16x32_fp8_fp8 v[144:147], a[34:35], v[194:195], v[144:147]// 000000006C5C: D3F30090 0E438522
	v_mfma_f32_16x16x32_fp8_fp8 v[144:147], a[36:37], v[196:197], v[144:147]// 000000006C64: D3F30090 0E438924
	v_mfma_f32_16x16x32_fp8_fp8 v[144:147], a[38:39], v[198:199], v[144:147]// 000000006C6C: D3F30090 0E438D26
	v_mfma_f32_16x16x32_fp8_fp8 v[144:147], a[40:41], v[200:201], v[144:147]// 000000006C74: D3F30090 0E439128
	buffer_load_dwordx4 a[100:103], v34, s[92:95], 0 offen offset:1024// 000000006C7C: E05C1400 80976422
	v_mfma_f32_16x16x32_fp8_fp8 v[144:147], a[42:43], v[202:203], v[144:147]// 000000006C84: D3F30090 0E43952A
	v_mfma_f32_16x16x32_fp8_fp8 v[144:147], a[44:45], v[204:205], v[144:147]// 000000006C8C: D3F30090 0E43992C
	v_mfma_f32_16x16x32_fp8_fp8 v[144:147], a[46:47], v[206:207], v[144:147]// 000000006C94: D3F30090 0E439D2E
	v_mfma_f32_16x16x32_fp8_fp8 v[148:151], a[32:33], v[208:209], v[148:151]// 000000006C9C: D3F30094 0E53A120
	buffer_load_dwordx4 a[104:107], v34, s[92:95], 0 offen offset:2048// 000000006CA4: E05C1800 80976822
	v_mfma_f32_16x16x32_fp8_fp8 v[148:151], a[34:35], v[210:211], v[148:151]// 000000006CAC: D3F30094 0E53A522
	v_mfma_f32_16x16x32_fp8_fp8 v[148:151], a[36:37], v[212:213], v[148:151]// 000000006CB4: D3F30094 0E53A924
	v_mfma_f32_16x16x32_fp8_fp8 v[148:151], a[38:39], v[214:215], v[148:151]// 000000006CBC: D3F30094 0E53AD26
	v_mfma_f32_16x16x32_fp8_fp8 v[148:151], a[40:41], v[216:217], v[148:151]// 000000006CC4: D3F30094 0E53B128
	buffer_load_dwordx4 a[108:111], v34, s[92:95], 0 offen offset:3072// 000000006CCC: E05C1C00 80976C22
	v_mfma_f32_16x16x32_fp8_fp8 v[148:151], a[42:43], v[218:219], v[148:151]// 000000006CD4: D3F30094 0E53B52A
	v_mfma_f32_16x16x32_fp8_fp8 v[148:151], a[44:45], v[220:221], v[148:151]// 000000006CDC: D3F30094 0E53B92C
	v_mfma_f32_16x16x32_fp8_fp8 v[148:151], a[46:47], v[222:223], v[148:151]// 000000006CE4: D3F30094 0E53BD2E
	s_waitcnt vmcnt(20)                                        // 000000006CEC: BF8C4F74
	v_mfma_f32_16x16x32_fp8_fp8 v[152:155], a[48:49], v[192:193], v[152:155]// 000000006CF0: D3F30098 0E638130
	buffer_load_dwordx4 a[112:115], v35, s[92:95], 0 offen     // 000000006CF8: E05C1000 80977023
	v_mfma_f32_16x16x32_fp8_fp8 v[152:155], a[50:51], v[194:195], v[152:155]// 000000006D00: D3F30098 0E638532
	v_mfma_f32_16x16x32_fp8_fp8 v[152:155], a[52:53], v[196:197], v[152:155]// 000000006D08: D3F30098 0E638934
	v_mfma_f32_16x16x32_fp8_fp8 v[152:155], a[54:55], v[198:199], v[152:155]// 000000006D10: D3F30098 0E638D36
	v_mfma_f32_16x16x32_fp8_fp8 v[152:155], a[56:57], v[200:201], v[152:155]// 000000006D18: D3F30098 0E639138
	buffer_load_dwordx4 a[116:119], v35, s[92:95], 0 offen offset:1024// 000000006D20: E05C1400 80977423
	v_mfma_f32_16x16x32_fp8_fp8 v[152:155], a[58:59], v[202:203], v[152:155]// 000000006D28: D3F30098 0E63953A
	v_mfma_f32_16x16x32_fp8_fp8 v[152:155], a[60:61], v[204:205], v[152:155]// 000000006D30: D3F30098 0E63993C
	v_mfma_f32_16x16x32_fp8_fp8 v[152:155], a[62:63], v[206:207], v[152:155]// 000000006D38: D3F30098 0E639D3E
	v_mfma_f32_16x16x32_fp8_fp8 v[156:159], a[48:49], v[208:209], v[156:159]// 000000006D40: D3F3009C 0E73A130
	buffer_load_dwordx4 a[120:123], v35, s[92:95], 0 offen offset:2048// 000000006D48: E05C1800 80977823
	v_mfma_f32_16x16x32_fp8_fp8 v[156:159], a[50:51], v[210:211], v[156:159]// 000000006D50: D3F3009C 0E73A532
	v_mfma_f32_16x16x32_fp8_fp8 v[156:159], a[52:53], v[212:213], v[156:159]// 000000006D58: D3F3009C 0E73A934
	v_mfma_f32_16x16x32_fp8_fp8 v[156:159], a[54:55], v[214:215], v[156:159]// 000000006D60: D3F3009C 0E73AD36
	v_mfma_f32_16x16x32_fp8_fp8 v[156:159], a[56:57], v[216:217], v[156:159]// 000000006D68: D3F3009C 0E73B138
	buffer_load_dwordx4 a[124:127], v35, s[92:95], 0 offen offset:3072// 000000006D70: E05C1C00 80977C23
	v_mfma_f32_16x16x32_fp8_fp8 v[156:159], a[58:59], v[218:219], v[156:159]// 000000006D78: D3F3009C 0E73B53A
	v_mfma_f32_16x16x32_fp8_fp8 v[156:159], a[60:61], v[220:221], v[156:159]// 000000006D80: D3F3009C 0E73B93C
	v_mfma_f32_16x16x32_fp8_fp8 v[156:159], a[62:63], v[222:223], v[156:159]// 000000006D88: D3F3009C 0E73BD3E
	s_waitcnt vmcnt(8)                                         // 000000006D90: BF8C0F78
	s_barrier                                                  // 000000006D94: BF8A0000
	v_mfma_f32_16x16x32_fp8_fp8 v[64:67], a[64:65], v[192:193], v[64:67]// 000000006D98: D3F30040 0D038140
	buffer_load_dwordx4 a[0:3], v32, s[24:27], 0 offen         // 000000006DA0: E05C1000 80860020
	v_mfma_f32_16x16x32_fp8_fp8 v[64:67], a[66:67], v[194:195], v[64:67]// 000000006DA8: D3F30040 0D038542
	v_mfma_f32_16x16x32_fp8_fp8 v[64:67], a[68:69], v[196:197], v[64:67]// 000000006DB0: D3F30040 0D038944
	v_mfma_f32_16x16x32_fp8_fp8 v[64:67], a[70:71], v[198:199], v[64:67]// 000000006DB8: D3F30040 0D038D46
	v_mfma_f32_16x16x32_fp8_fp8 v[64:67], a[72:73], v[200:201], v[64:67]// 000000006DC0: D3F30040 0D039148
	buffer_load_dwordx4 a[4:7], v32, s[24:27], 0 offen offset:1024// 000000006DC8: E05C1400 80860420
	v_mfma_f32_16x16x32_fp8_fp8 v[64:67], a[74:75], v[202:203], v[64:67]// 000000006DD0: D3F30040 0D03954A
	v_mfma_f32_16x16x32_fp8_fp8 v[64:67], a[76:77], v[204:205], v[64:67]// 000000006DD8: D3F30040 0D03994C
	v_mfma_f32_16x16x32_fp8_fp8 v[64:67], a[78:79], v[206:207], v[64:67]// 000000006DE0: D3F30040 0D039D4E
	v_mfma_f32_16x16x32_fp8_fp8 v[68:71], a[64:65], v[208:209], v[68:71]// 000000006DE8: D3F30044 0D13A140
	buffer_load_dwordx4 a[8:11], v32, s[24:27], 0 offen offset:2048// 000000006DF0: E05C1800 80860820
	v_mfma_f32_16x16x32_fp8_fp8 v[68:71], a[66:67], v[210:211], v[68:71]// 000000006DF8: D3F30044 0D13A542
	v_mfma_f32_16x16x32_fp8_fp8 v[68:71], a[68:69], v[212:213], v[68:71]// 000000006E00: D3F30044 0D13A944
	v_mfma_f32_16x16x32_fp8_fp8 v[68:71], a[70:71], v[214:215], v[68:71]// 000000006E08: D3F30044 0D13AD46
	v_mfma_f32_16x16x32_fp8_fp8 v[68:71], a[72:73], v[216:217], v[68:71]// 000000006E10: D3F30044 0D13B148
	buffer_load_dwordx4 a[12:15], v32, s[24:27], 0 offen offset:3072// 000000006E18: E05C1C00 80860C20
	v_mfma_f32_16x16x32_fp8_fp8 v[68:71], a[74:75], v[218:219], v[68:71]// 000000006E20: D3F30044 0D13B54A
	v_mfma_f32_16x16x32_fp8_fp8 v[68:71], a[76:77], v[220:221], v[68:71]// 000000006E28: D3F30044 0D13B94C
	v_mfma_f32_16x16x32_fp8_fp8 v[68:71], a[78:79], v[222:223], v[68:71]// 000000006E30: D3F30044 0D13BD4E
	v_mfma_f32_16x16x32_fp8_fp8 v[72:75], a[80:81], v[192:193], v[72:75]// 000000006E38: D3F30048 0D238150
	buffer_load_dwordx4 a[16:19], v33, s[24:27], 0 offen       // 000000006E40: E05C1000 80861021
	v_mfma_f32_16x16x32_fp8_fp8 v[72:75], a[82:83], v[194:195], v[72:75]// 000000006E48: D3F30048 0D238552
	v_mfma_f32_16x16x32_fp8_fp8 v[72:75], a[84:85], v[196:197], v[72:75]// 000000006E50: D3F30048 0D238954
	v_mfma_f32_16x16x32_fp8_fp8 v[72:75], a[86:87], v[198:199], v[72:75]// 000000006E58: D3F30048 0D238D56
	v_mfma_f32_16x16x32_fp8_fp8 v[72:75], a[88:89], v[200:201], v[72:75]// 000000006E60: D3F30048 0D239158
	buffer_load_dwordx4 a[20:23], v33, s[24:27], 0 offen offset:1024// 000000006E68: E05C1400 80861421
	v_mfma_f32_16x16x32_fp8_fp8 v[72:75], a[90:91], v[202:203], v[72:75]// 000000006E70: D3F30048 0D23955A
	v_mfma_f32_16x16x32_fp8_fp8 v[72:75], a[92:93], v[204:205], v[72:75]// 000000006E78: D3F30048 0D23995C
	v_mfma_f32_16x16x32_fp8_fp8 v[72:75], a[94:95], v[206:207], v[72:75]// 000000006E80: D3F30048 0D239D5E
	v_mfma_f32_16x16x32_fp8_fp8 v[76:79], a[80:81], v[208:209], v[76:79]// 000000006E88: D3F3004C 0D33A150
	buffer_load_dwordx4 a[24:27], v33, s[24:27], 0 offen offset:2048// 000000006E90: E05C1800 80861821
	v_mfma_f32_16x16x32_fp8_fp8 v[76:79], a[82:83], v[210:211], v[76:79]// 000000006E98: D3F3004C 0D33A552
	v_mfma_f32_16x16x32_fp8_fp8 v[76:79], a[84:85], v[212:213], v[76:79]// 000000006EA0: D3F3004C 0D33A954
	v_mfma_f32_16x16x32_fp8_fp8 v[76:79], a[86:87], v[214:215], v[76:79]// 000000006EA8: D3F3004C 0D33AD56
	v_mfma_f32_16x16x32_fp8_fp8 v[76:79], a[88:89], v[216:217], v[76:79]// 000000006EB0: D3F3004C 0D33B158
	buffer_load_dwordx4 a[28:31], v33, s[24:27], 0 offen offset:3072// 000000006EB8: E05C1C00 80861C21
	v_mfma_f32_16x16x32_fp8_fp8 v[76:79], a[90:91], v[218:219], v[76:79]// 000000006EC0: D3F3004C 0D33B55A
	v_mfma_f32_16x16x32_fp8_fp8 v[76:79], a[92:93], v[220:221], v[76:79]// 000000006EC8: D3F3004C 0D33B95C
	v_mfma_f32_16x16x32_fp8_fp8 v[76:79], a[94:95], v[222:223], v[76:79]// 000000006ED0: D3F3004C 0D33BD5E
	s_waitcnt vmcnt(12)                                        // 000000006ED8: BF8C0F7C
	v_mfma_f32_16x16x32_fp8_fp8 v[80:83], a[96:97], v[192:193], v[80:83]// 000000006EDC: D3F30050 0D438160
	buffer_load_dwordx4 a[32:35], v34, s[24:27], 0 offen       // 000000006EE4: E05C1000 80862022
	v_mfma_f32_16x16x32_fp8_fp8 v[80:83], a[98:99], v[194:195], v[80:83]// 000000006EEC: D3F30050 0D438562
	v_mfma_f32_16x16x32_fp8_fp8 v[80:83], a[100:101], v[196:197], v[80:83]// 000000006EF4: D3F30050 0D438964
	ds_read_b128 v[160:163], v2                                // 000000006EFC: D9FE0000 A0000002
	v_mfma_f32_16x16x32_fp8_fp8 v[80:83], a[102:103], v[198:199], v[80:83]// 000000006F04: D3F30050 0D438D66
	v_mfma_f32_16x16x32_fp8_fp8 v[80:83], a[104:105], v[200:201], v[80:83]// 000000006F0C: D3F30050 0D439168
	buffer_load_dwordx4 a[36:39], v34, s[24:27], 0 offen offset:1024// 000000006F14: E05C1400 80862422
	v_mfma_f32_16x16x32_fp8_fp8 v[80:83], a[106:107], v[202:203], v[80:83]// 000000006F1C: D3F30050 0D43956A
	v_mfma_f32_16x16x32_fp8_fp8 v[80:83], a[108:109], v[204:205], v[80:83]// 000000006F24: D3F30050 0D43996C
	ds_read_b128 v[164:167], v2 offset:64                      // 000000006F2C: D9FE0040 A4000002
	v_mfma_f32_16x16x32_fp8_fp8 v[80:83], a[110:111], v[206:207], v[80:83]// 000000006F34: D3F30050 0D439D6E
	v_mfma_f32_16x16x32_fp8_fp8 v[84:87], a[96:97], v[208:209], v[84:87]// 000000006F3C: D3F30054 0D53A160
	buffer_load_dwordx4 a[40:43], v34, s[24:27], 0 offen offset:2048// 000000006F44: E05C1800 80862822
	v_mfma_f32_16x16x32_fp8_fp8 v[84:87], a[98:99], v[210:211], v[84:87]// 000000006F4C: D3F30054 0D53A562
	v_mfma_f32_16x16x32_fp8_fp8 v[84:87], a[100:101], v[212:213], v[84:87]// 000000006F54: D3F30054 0D53A964
	ds_read_b128 v[168:171], v2 offset:128                     // 000000006F5C: D9FE0080 A8000002
	v_mfma_f32_16x16x32_fp8_fp8 v[84:87], a[102:103], v[214:215], v[84:87]// 000000006F64: D3F30054 0D53AD66
	v_mfma_f32_16x16x32_fp8_fp8 v[84:87], a[104:105], v[216:217], v[84:87]// 000000006F6C: D3F30054 0D53B168
	buffer_load_dwordx4 a[44:47], v34, s[24:27], 0 offen offset:3072// 000000006F74: E05C1C00 80862C22
	v_mfma_f32_16x16x32_fp8_fp8 v[84:87], a[106:107], v[218:219], v[84:87]// 000000006F7C: D3F30054 0D53B56A
	v_mfma_f32_16x16x32_fp8_fp8 v[84:87], a[108:109], v[220:221], v[84:87]// 000000006F84: D3F30054 0D53B96C
	ds_read_b128 v[172:175], v2 offset:192                     // 000000006F8C: D9FE00C0 AC000002
	v_mfma_f32_16x16x32_fp8_fp8 v[84:87], a[110:111], v[222:223], v[84:87]// 000000006F94: D3F30054 0D53BD6E
	s_waitcnt vmcnt(12)                                        // 000000006F9C: BF8C0F7C
	v_mfma_f32_16x16x32_fp8_fp8 v[88:91], a[112:113], v[192:193], v[88:91]// 000000006FA0: D3F30058 0D638170
	buffer_load_dwordx4 a[48:51], v35, s[24:27], 0 offen       // 000000006FA8: E05C1000 80863023
	v_mfma_f32_16x16x32_fp8_fp8 v[88:91], a[114:115], v[194:195], v[88:91]// 000000006FB0: D3F30058 0D638572
	v_mfma_f32_16x16x32_fp8_fp8 v[88:91], a[116:117], v[196:197], v[88:91]// 000000006FB8: D3F30058 0D638974
	ds_read_b128 v[176:179], v2 offset:1024                    // 000000006FC0: D9FE0400 B0000002
	v_mfma_f32_16x16x32_fp8_fp8 v[88:91], a[118:119], v[198:199], v[88:91]// 000000006FC8: D3F30058 0D638D76
	v_mfma_f32_16x16x32_fp8_fp8 v[88:91], a[120:121], v[200:201], v[88:91]// 000000006FD0: D3F30058 0D639178
	buffer_load_dwordx4 a[52:55], v35, s[24:27], 0 offen offset:1024// 000000006FD8: E05C1400 80863423
	v_mfma_f32_16x16x32_fp8_fp8 v[88:91], a[122:123], v[202:203], v[88:91]// 000000006FE0: D3F30058 0D63957A
	v_mfma_f32_16x16x32_fp8_fp8 v[88:91], a[124:125], v[204:205], v[88:91]// 000000006FE8: D3F30058 0D63997C
	ds_read_b128 v[180:183], v2 offset:1088                    // 000000006FF0: D9FE0440 B4000002
	v_mfma_f32_16x16x32_fp8_fp8 v[88:91], a[126:127], v[206:207], v[88:91]// 000000006FF8: D3F30058 0D639D7E
	v_mfma_f32_16x16x32_fp8_fp8 v[92:95], a[112:113], v[208:209], v[92:95]// 000000007000: D3F3005C 0D73A170
	buffer_load_dwordx4 a[56:59], v35, s[24:27], 0 offen offset:2048// 000000007008: E05C1800 80863823
	v_mfma_f32_16x16x32_fp8_fp8 v[92:95], a[114:115], v[210:211], v[92:95]// 000000007010: D3F3005C 0D73A572
	v_mfma_f32_16x16x32_fp8_fp8 v[92:95], a[116:117], v[212:213], v[92:95]// 000000007018: D3F3005C 0D73A974
	ds_read_b128 v[184:187], v2 offset:1152                    // 000000007020: D9FE0480 B8000002
	v_mfma_f32_16x16x32_fp8_fp8 v[92:95], a[118:119], v[214:215], v[92:95]// 000000007028: D3F3005C 0D73AD76
	v_mfma_f32_16x16x32_fp8_fp8 v[92:95], a[120:121], v[216:217], v[92:95]// 000000007030: D3F3005C 0D73B178
	buffer_load_dwordx4 a[60:63], v35, s[24:27], 0 offen offset:3072// 000000007038: E05C1C00 80863C23
	v_mfma_f32_16x16x32_fp8_fp8 v[92:95], a[122:123], v[218:219], v[92:95]// 000000007040: D3F3005C 0D73B57A
	v_mfma_f32_16x16x32_fp8_fp8 v[92:95], a[124:125], v[220:221], v[92:95]// 000000007048: D3F3005C 0D73B97C
	ds_read_b128 v[188:191], v2 offset:1216                    // 000000007050: D9FE04C0 BC000002
	v_mfma_f32_16x16x32_fp8_fp8 v[92:95], a[126:127], v[222:223], v[92:95]// 000000007058: D3F3005C 0D73BD7E
	s_add_u32 s60, 0x200, s80                                  // 000000007060: 803C50FF 00000200
	s_cmp_lt_u32 s60, s81                                      // 000000007068: BF0A513C
	s_cselect_b32 s57, s57, 0                                  // 00000000706C: 85398039
	s_add_u32 s60, 0x200, s80                                  // 000000007070: 803C50FF 00000200
	s_cmp_lt_u32 s60, s81                                      // 000000007078: BF0A513C
	s_cselect_b32 s58, s58, 0                                  // 00000000707C: 853A803A
	s_add_u32 s20, s57, s20                                    // 000000007080: 80141439
	s_addc_u32 s21, 0, s21                                     // 000000007084: 82151580
	s_add_u32 s24, s58, s24                                    // 000000007088: 8018183A
	s_addc_u32 s25, 0, s25                                     // 00000000708C: 82191980
	s_add_u32 s92, s90, s92                                    // 000000007090: 805C5C5A
	s_addc_u32 s93, 0, s93                                     // 000000007094: 825D5D80
	s_addk_i32 s80, 0x100                                      // 000000007098: B7500100
	s_cmp_lt_i32 s80, s81                                      // 00000000709C: BF045150
	s_cbranch_scc0 label_10AA                                  // 0000000070A0: BF840001
	s_branch label_0D99                                        // 0000000070A4: BF82FCEF

00000000000070a8 <label_10AA>:
	s_mov_b32 s36, -1                                          // 0000000070A8: BEA400C1
	s_mov_b32 s37, -1                                          // 0000000070AC: BEA500C1
	s_mov_b64 s[60:61], 0                                      // 0000000070B0: BEBC0180
	s_cmp_lt_u32 s82, s66                                      // 0000000070B4: BF0A4252
	s_cselect_b64 s[20:21], s[36:37], s[60:61]                 // 0000000070B8: 85943C24
	s_cmp_lt_u32 s83, s66                                      // 0000000070BC: BF0A4253
	s_cselect_b64 s[22:23], s[36:37], s[60:61]                 // 0000000070C0: 85963C24
	s_cmp_lt_u32 s84, s66                                      // 0000000070C4: BF0A4254
	s_cselect_b64 s[24:25], s[36:37], s[60:61]                 // 0000000070C8: 85983C24
	s_cmp_lt_u32 s85, s66                                      // 0000000070CC: BF0A4255
	s_cselect_b64 s[26:27], s[36:37], s[60:61]                 // 0000000070D0: 859A3C24
	s_cmp_lt_u32 s86, s66                                      // 0000000070D4: BF0A4256
	s_cselect_b64 s[28:29], s[36:37], s[60:61]                 // 0000000070D8: 859C3C24
	s_cmp_lt_u32 s87, s66                                      // 0000000070DC: BF0A4257
	s_cselect_b64 s[30:31], s[36:37], s[60:61]                 // 0000000070E0: 859E3C24
	s_cmp_lt_u32 s88, s66                                      // 0000000070E4: BF0A4258
	s_cselect_b64 s[32:33], s[36:37], s[60:61]                 // 0000000070E8: 85A03C24
	s_cmp_lt_u32 s89, s66                                      // 0000000070EC: BF0A4259
	s_cselect_b64 s[34:35], s[36:37], s[60:61]                 // 0000000070F0: 85A23C24
	v_mul_f32_e32 v128, v13, v128                              // 0000000070F4: 0B01010D
	v_mul_f32_e32 v128, v17, v128                              // 0000000070F8: 0B010111
	v_mul_f32_e32 v129, v13, v129                              // 0000000070FC: 0B03030D
	v_mul_f32_e32 v129, v17, v129                              // 000000007100: 0B030311
	v_mul_f32_e32 v130, v13, v130                              // 000000007104: 0B05050D
	v_mul_f32_e32 v130, v17, v130                              // 000000007108: 0B050511
	v_mul_f32_e32 v131, v13, v131                              // 00000000710C: 0B07070D
	v_mul_f32_e32 v131, v17, v131                              // 000000007110: 0B070711
	v_mul_f32_dpp v128, v15, v128 row_newbcast:0 row_mask:0xf bank_mask:0xf// 000000007114: 0B0100FA FF01500F
	v_mul_f32_dpp v129, v15, v129 row_newbcast:1 row_mask:0xf bank_mask:0xf// 00000000711C: 0B0302FA FF01510F
	v_mul_f32_dpp v130, v15, v130 row_newbcast:2 row_mask:0xf bank_mask:0xf// 000000007124: 0B0504FA FF01520F
	v_mul_f32_dpp v131, v15, v131 row_newbcast:3 row_mask:0xf bank_mask:0xf// 00000000712C: 0B0706FA FF01530F
	v_mul_f32_e32 v132, v14, v132                              // 000000007134: 0B09090E
	v_mul_f32_e32 v132, v18, v132                              // 000000007138: 0B090912
	v_mul_f32_e32 v133, v14, v133                              // 00000000713C: 0B0B0B0E
	v_mul_f32_e32 v133, v18, v133                              // 000000007140: 0B0B0B12
	v_mul_f32_e32 v134, v14, v134                              // 000000007144: 0B0D0D0E
	v_mul_f32_e32 v134, v18, v134                              // 000000007148: 0B0D0D12
	v_mul_f32_e32 v135, v14, v135                              // 00000000714C: 0B0F0F0E
	v_mul_f32_e32 v135, v18, v135                              // 000000007150: 0B0F0F12
	v_mul_f32_dpp v132, v15, v132 row_newbcast:0 row_mask:0xf bank_mask:0xf// 000000007154: 0B0908FA FF01500F
	v_mul_f32_dpp v133, v15, v133 row_newbcast:1 row_mask:0xf bank_mask:0xf// 00000000715C: 0B0B0AFA FF01510F
	v_mul_f32_dpp v134, v15, v134 row_newbcast:2 row_mask:0xf bank_mask:0xf// 000000007164: 0B0D0CFA FF01520F
	v_mul_f32_dpp v135, v15, v135 row_newbcast:3 row_mask:0xf bank_mask:0xf// 00000000716C: 0B0F0EFA FF01530F
	v_mul_f32_e32 v136, v13, v136                              // 000000007174: 0B11110D
	v_mul_f32_e32 v136, v17, v136                              // 000000007178: 0B111111
	v_mul_f32_e32 v137, v13, v137                              // 00000000717C: 0B13130D
	v_mul_f32_e32 v137, v17, v137                              // 000000007180: 0B131311
	v_mul_f32_e32 v138, v13, v138                              // 000000007184: 0B15150D
	v_mul_f32_e32 v138, v17, v138                              // 000000007188: 0B151511
	v_mul_f32_e32 v139, v13, v139                              // 00000000718C: 0B17170D
	v_mul_f32_e32 v139, v17, v139                              // 000000007190: 0B171711
	v_mul_f32_dpp v136, v15, v136 row_newbcast:4 row_mask:0xf bank_mask:0xf// 000000007194: 0B1110FA FF01540F
	v_mul_f32_dpp v137, v15, v137 row_newbcast:5 row_mask:0xf bank_mask:0xf// 00000000719C: 0B1312FA FF01550F
	v_mul_f32_dpp v138, v15, v138 row_newbcast:6 row_mask:0xf bank_mask:0xf// 0000000071A4: 0B1514FA FF01560F
	v_mul_f32_dpp v139, v15, v139 row_newbcast:7 row_mask:0xf bank_mask:0xf// 0000000071AC: 0B1716FA FF01570F
	v_mul_f32_e32 v140, v14, v140                              // 0000000071B4: 0B19190E
	v_mul_f32_e32 v140, v18, v140                              // 0000000071B8: 0B191912
	v_mul_f32_e32 v141, v14, v141                              // 0000000071BC: 0B1B1B0E
	v_mul_f32_e32 v141, v18, v141                              // 0000000071C0: 0B1B1B12
	v_mul_f32_e32 v142, v14, v142                              // 0000000071C4: 0B1D1D0E
	v_mul_f32_e32 v142, v18, v142                              // 0000000071C8: 0B1D1D12
	v_mul_f32_e32 v143, v14, v143                              // 0000000071CC: 0B1F1F0E
	v_mul_f32_e32 v143, v18, v143                              // 0000000071D0: 0B1F1F12
	v_mul_f32_dpp v140, v15, v140 row_newbcast:4 row_mask:0xf bank_mask:0xf// 0000000071D4: 0B1918FA FF01540F
	v_mul_f32_dpp v141, v15, v141 row_newbcast:5 row_mask:0xf bank_mask:0xf// 0000000071DC: 0B1B1AFA FF01550F
	v_mul_f32_dpp v142, v15, v142 row_newbcast:6 row_mask:0xf bank_mask:0xf// 0000000071E4: 0B1D1CFA FF01560F
	v_mul_f32_dpp v143, v15, v143 row_newbcast:7 row_mask:0xf bank_mask:0xf// 0000000071EC: 0B1F1EFA FF01570F
	v_mul_f32_e32 v144, v13, v144                              // 0000000071F4: 0B21210D
	v_mul_f32_e32 v144, v17, v144                              // 0000000071F8: 0B212111
	v_mul_f32_e32 v145, v13, v145                              // 0000000071FC: 0B23230D
	v_mul_f32_e32 v145, v17, v145                              // 000000007200: 0B232311
	v_mul_f32_e32 v146, v13, v146                              // 000000007204: 0B25250D
	v_mul_f32_e32 v146, v17, v146                              // 000000007208: 0B252511
	v_mul_f32_e32 v147, v13, v147                              // 00000000720C: 0B27270D
	v_mul_f32_e32 v147, v17, v147                              // 000000007210: 0B272711
	v_mul_f32_dpp v144, v15, v144 row_newbcast:8 row_mask:0xf bank_mask:0xf// 000000007214: 0B2120FA FF01580F
	v_mul_f32_dpp v145, v15, v145 row_newbcast:9 row_mask:0xf bank_mask:0xf// 00000000721C: 0B2322FA FF01590F
	v_mul_f32_dpp v146, v15, v146 row_newbcast:10 row_mask:0xf bank_mask:0xf// 000000007224: 0B2524FA FF015A0F
	v_mul_f32_dpp v147, v15, v147 row_newbcast:11 row_mask:0xf bank_mask:0xf// 00000000722C: 0B2726FA FF015B0F
	v_mul_f32_e32 v148, v14, v148                              // 000000007234: 0B29290E
	v_mul_f32_e32 v148, v18, v148                              // 000000007238: 0B292912
	v_mul_f32_e32 v149, v14, v149                              // 00000000723C: 0B2B2B0E
	v_mul_f32_e32 v149, v18, v149                              // 000000007240: 0B2B2B12
	v_mul_f32_e32 v150, v14, v150                              // 000000007244: 0B2D2D0E
	v_mul_f32_e32 v150, v18, v150                              // 000000007248: 0B2D2D12
	v_mul_f32_e32 v151, v14, v151                              // 00000000724C: 0B2F2F0E
	v_mul_f32_e32 v151, v18, v151                              // 000000007250: 0B2F2F12
	v_mul_f32_dpp v148, v15, v148 row_newbcast:8 row_mask:0xf bank_mask:0xf// 000000007254: 0B2928FA FF01580F
	v_mul_f32_dpp v149, v15, v149 row_newbcast:9 row_mask:0xf bank_mask:0xf// 00000000725C: 0B2B2AFA FF01590F
	v_mul_f32_dpp v150, v15, v150 row_newbcast:10 row_mask:0xf bank_mask:0xf// 000000007264: 0B2D2CFA FF015A0F
	v_mul_f32_dpp v151, v15, v151 row_newbcast:11 row_mask:0xf bank_mask:0xf// 00000000726C: 0B2F2EFA FF015B0F
	v_mul_f32_e32 v152, v13, v152                              // 000000007274: 0B31310D
	v_mul_f32_e32 v152, v17, v152                              // 000000007278: 0B313111
	v_mul_f32_e32 v153, v13, v153                              // 00000000727C: 0B33330D
	v_mul_f32_e32 v153, v17, v153                              // 000000007280: 0B333311
	v_mul_f32_e32 v154, v13, v154                              // 000000007284: 0B35350D
	v_mul_f32_e32 v154, v17, v154                              // 000000007288: 0B353511
	v_mul_f32_e32 v155, v13, v155                              // 00000000728C: 0B37370D
	v_mul_f32_e32 v155, v17, v155                              // 000000007290: 0B373711
	v_mul_f32_dpp v152, v15, v152 row_newbcast:12 row_mask:0xf bank_mask:0xf// 000000007294: 0B3130FA FF015C0F
	v_mul_f32_dpp v153, v15, v153 row_newbcast:13 row_mask:0xf bank_mask:0xf// 00000000729C: 0B3332FA FF015D0F
	v_mul_f32_dpp v154, v15, v154 row_newbcast:14 row_mask:0xf bank_mask:0xf// 0000000072A4: 0B3534FA FF015E0F
	v_mul_f32_dpp v155, v15, v155 row_newbcast:15 row_mask:0xf bank_mask:0xf// 0000000072AC: 0B3736FA FF015F0F
	v_mul_f32_e32 v156, v14, v156                              // 0000000072B4: 0B39390E
	v_mul_f32_e32 v156, v18, v156                              // 0000000072B8: 0B393912
	v_mul_f32_e32 v157, v14, v157                              // 0000000072BC: 0B3B3B0E
	v_mul_f32_e32 v157, v18, v157                              // 0000000072C0: 0B3B3B12
	v_mul_f32_e32 v158, v14, v158                              // 0000000072C4: 0B3D3D0E
	v_mul_f32_e32 v158, v18, v158                              // 0000000072C8: 0B3D3D12
	v_mul_f32_e32 v159, v14, v159                              // 0000000072CC: 0B3F3F0E
	v_mul_f32_e32 v159, v18, v159                              // 0000000072D0: 0B3F3F12
	v_mul_f32_dpp v156, v15, v156 row_newbcast:12 row_mask:0xf bank_mask:0xf// 0000000072D4: 0B3938FA FF015C0F
	v_mul_f32_dpp v157, v15, v157 row_newbcast:13 row_mask:0xf bank_mask:0xf// 0000000072DC: 0B3B3AFA FF015D0F
	v_mul_f32_dpp v158, v15, v158 row_newbcast:14 row_mask:0xf bank_mask:0xf// 0000000072E4: 0B3D3CFA FF015E0F
	v_mul_f32_dpp v159, v15, v159 row_newbcast:15 row_mask:0xf bank_mask:0xf// 0000000072EC: 0B3F3EFA FF015F0F
	v_mul_f32_e32 v64, v13, v64                                // 0000000072F4: 0A80810D
	v_mul_f32_e32 v64, v17, v64                                // 0000000072F8: 0A808111
	v_mul_f32_e32 v65, v13, v65                                // 0000000072FC: 0A82830D
	v_mul_f32_e32 v65, v17, v65                                // 000000007300: 0A828311
	v_mul_f32_e32 v66, v13, v66                                // 000000007304: 0A84850D
	v_mul_f32_e32 v66, v17, v66                                // 000000007308: 0A848511
	v_mul_f32_e32 v67, v13, v67                                // 00000000730C: 0A86870D
	v_mul_f32_e32 v67, v17, v67                                // 000000007310: 0A868711
	v_mul_f32_dpp v64, v44, v64 row_newbcast:0 row_mask:0xf bank_mask:0xf// 000000007314: 0A8080FA FF01502C
	v_mul_f32_dpp v65, v44, v65 row_newbcast:1 row_mask:0xf bank_mask:0xf// 00000000731C: 0A8282FA FF01512C
	v_mul_f32_dpp v66, v44, v66 row_newbcast:2 row_mask:0xf bank_mask:0xf// 000000007324: 0A8484FA FF01522C
	v_mul_f32_dpp v67, v44, v67 row_newbcast:3 row_mask:0xf bank_mask:0xf// 00000000732C: 0A8686FA FF01532C
	v_mul_f32_e32 v68, v14, v68                                // 000000007334: 0A88890E
	v_mul_f32_e32 v68, v18, v68                                // 000000007338: 0A888912
	v_mul_f32_e32 v69, v14, v69                                // 00000000733C: 0A8A8B0E
	v_mul_f32_e32 v69, v18, v69                                // 000000007340: 0A8A8B12
	v_mul_f32_e32 v70, v14, v70                                // 000000007344: 0A8C8D0E
	v_mul_f32_e32 v70, v18, v70                                // 000000007348: 0A8C8D12
	v_mul_f32_e32 v71, v14, v71                                // 00000000734C: 0A8E8F0E
	v_mul_f32_e32 v71, v18, v71                                // 000000007350: 0A8E8F12
	v_mul_f32_dpp v68, v44, v68 row_newbcast:0 row_mask:0xf bank_mask:0xf// 000000007354: 0A8888FA FF01502C
	v_mul_f32_dpp v69, v44, v69 row_newbcast:1 row_mask:0xf bank_mask:0xf// 00000000735C: 0A8A8AFA FF01512C
	v_mul_f32_dpp v70, v44, v70 row_newbcast:2 row_mask:0xf bank_mask:0xf// 000000007364: 0A8C8CFA FF01522C
	v_mul_f32_dpp v71, v44, v71 row_newbcast:3 row_mask:0xf bank_mask:0xf// 00000000736C: 0A8E8EFA FF01532C
	v_mul_f32_e32 v72, v13, v72                                // 000000007374: 0A90910D
	v_mul_f32_e32 v72, v17, v72                                // 000000007378: 0A909111
	v_mul_f32_e32 v73, v13, v73                                // 00000000737C: 0A92930D
	v_mul_f32_e32 v73, v17, v73                                // 000000007380: 0A929311
	v_mul_f32_e32 v74, v13, v74                                // 000000007384: 0A94950D
	v_mul_f32_e32 v74, v17, v74                                // 000000007388: 0A949511
	v_mul_f32_e32 v75, v13, v75                                // 00000000738C: 0A96970D
	v_mul_f32_e32 v75, v17, v75                                // 000000007390: 0A969711
	v_mul_f32_dpp v72, v44, v72 row_newbcast:4 row_mask:0xf bank_mask:0xf// 000000007394: 0A9090FA FF01542C
	v_mul_f32_dpp v73, v44, v73 row_newbcast:5 row_mask:0xf bank_mask:0xf// 00000000739C: 0A9292FA FF01552C
	v_mul_f32_dpp v74, v44, v74 row_newbcast:6 row_mask:0xf bank_mask:0xf// 0000000073A4: 0A9494FA FF01562C
	v_mul_f32_dpp v75, v44, v75 row_newbcast:7 row_mask:0xf bank_mask:0xf// 0000000073AC: 0A9696FA FF01572C
	v_mul_f32_e32 v76, v14, v76                                // 0000000073B4: 0A98990E
	v_mul_f32_e32 v76, v18, v76                                // 0000000073B8: 0A989912
	v_mul_f32_e32 v77, v14, v77                                // 0000000073BC: 0A9A9B0E
	v_mul_f32_e32 v77, v18, v77                                // 0000000073C0: 0A9A9B12
	v_mul_f32_e32 v78, v14, v78                                // 0000000073C4: 0A9C9D0E
	v_mul_f32_e32 v78, v18, v78                                // 0000000073C8: 0A9C9D12
	v_mul_f32_e32 v79, v14, v79                                // 0000000073CC: 0A9E9F0E
	v_mul_f32_e32 v79, v18, v79                                // 0000000073D0: 0A9E9F12
	v_mul_f32_dpp v76, v44, v76 row_newbcast:4 row_mask:0xf bank_mask:0xf// 0000000073D4: 0A9898FA FF01542C
	v_mul_f32_dpp v77, v44, v77 row_newbcast:5 row_mask:0xf bank_mask:0xf// 0000000073DC: 0A9A9AFA FF01552C
	v_mul_f32_dpp v78, v44, v78 row_newbcast:6 row_mask:0xf bank_mask:0xf// 0000000073E4: 0A9C9CFA FF01562C
	v_mul_f32_dpp v79, v44, v79 row_newbcast:7 row_mask:0xf bank_mask:0xf// 0000000073EC: 0A9E9EFA FF01572C
	v_mul_f32_e32 v80, v13, v80                                // 0000000073F4: 0AA0A10D
	v_mul_f32_e32 v80, v17, v80                                // 0000000073F8: 0AA0A111
	v_mul_f32_e32 v81, v13, v81                                // 0000000073FC: 0AA2A30D
	v_mul_f32_e32 v81, v17, v81                                // 000000007400: 0AA2A311
	v_mul_f32_e32 v82, v13, v82                                // 000000007404: 0AA4A50D
	v_mul_f32_e32 v82, v17, v82                                // 000000007408: 0AA4A511
	v_mul_f32_e32 v83, v13, v83                                // 00000000740C: 0AA6A70D
	v_mul_f32_e32 v83, v17, v83                                // 000000007410: 0AA6A711
	v_mul_f32_dpp v80, v44, v80 row_newbcast:8 row_mask:0xf bank_mask:0xf// 000000007414: 0AA0A0FA FF01582C
	v_mul_f32_dpp v81, v44, v81 row_newbcast:9 row_mask:0xf bank_mask:0xf// 00000000741C: 0AA2A2FA FF01592C
	v_mul_f32_dpp v82, v44, v82 row_newbcast:10 row_mask:0xf bank_mask:0xf// 000000007424: 0AA4A4FA FF015A2C
	v_mul_f32_dpp v83, v44, v83 row_newbcast:11 row_mask:0xf bank_mask:0xf// 00000000742C: 0AA6A6FA FF015B2C
	v_mul_f32_e32 v84, v14, v84                                // 000000007434: 0AA8A90E
	v_mul_f32_e32 v84, v18, v84                                // 000000007438: 0AA8A912
	v_mul_f32_e32 v85, v14, v85                                // 00000000743C: 0AAAAB0E
	v_mul_f32_e32 v85, v18, v85                                // 000000007440: 0AAAAB12
	v_mul_f32_e32 v86, v14, v86                                // 000000007444: 0AACAD0E
	v_mul_f32_e32 v86, v18, v86                                // 000000007448: 0AACAD12
	v_mul_f32_e32 v87, v14, v87                                // 00000000744C: 0AAEAF0E
	v_mul_f32_e32 v87, v18, v87                                // 000000007450: 0AAEAF12
	v_mul_f32_dpp v84, v44, v84 row_newbcast:8 row_mask:0xf bank_mask:0xf// 000000007454: 0AA8A8FA FF01582C
	v_mul_f32_dpp v85, v44, v85 row_newbcast:9 row_mask:0xf bank_mask:0xf// 00000000745C: 0AAAAAFA FF01592C
	v_mul_f32_dpp v86, v44, v86 row_newbcast:10 row_mask:0xf bank_mask:0xf// 000000007464: 0AACACFA FF015A2C
	v_mul_f32_dpp v87, v44, v87 row_newbcast:11 row_mask:0xf bank_mask:0xf// 00000000746C: 0AAEAEFA FF015B2C
	v_mul_f32_e32 v88, v13, v88                                // 000000007474: 0AB0B10D
	v_mul_f32_e32 v88, v17, v88                                // 000000007478: 0AB0B111
	v_mul_f32_e32 v89, v13, v89                                // 00000000747C: 0AB2B30D
	v_mul_f32_e32 v89, v17, v89                                // 000000007480: 0AB2B311
	v_mul_f32_e32 v90, v13, v90                                // 000000007484: 0AB4B50D
	v_mul_f32_e32 v90, v17, v90                                // 000000007488: 0AB4B511
	v_mul_f32_e32 v91, v13, v91                                // 00000000748C: 0AB6B70D
	v_mul_f32_e32 v91, v17, v91                                // 000000007490: 0AB6B711
	v_mul_f32_dpp v88, v44, v88 row_newbcast:12 row_mask:0xf bank_mask:0xf// 000000007494: 0AB0B0FA FF015C2C
	v_mul_f32_dpp v89, v44, v89 row_newbcast:13 row_mask:0xf bank_mask:0xf// 00000000749C: 0AB2B2FA FF015D2C
	v_mul_f32_dpp v90, v44, v90 row_newbcast:14 row_mask:0xf bank_mask:0xf// 0000000074A4: 0AB4B4FA FF015E2C
	v_mul_f32_dpp v91, v44, v91 row_newbcast:15 row_mask:0xf bank_mask:0xf// 0000000074AC: 0AB6B6FA FF015F2C
	v_mul_f32_e32 v92, v14, v92                                // 0000000074B4: 0AB8B90E
	v_mul_f32_e32 v92, v18, v92                                // 0000000074B8: 0AB8B912
	v_mul_f32_e32 v93, v14, v93                                // 0000000074BC: 0ABABB0E
	v_mul_f32_e32 v93, v18, v93                                // 0000000074C0: 0ABABB12
	v_mul_f32_e32 v94, v14, v94                                // 0000000074C4: 0ABCBD0E
	v_mul_f32_e32 v94, v18, v94                                // 0000000074C8: 0ABCBD12
	v_mul_f32_e32 v95, v14, v95                                // 0000000074CC: 0ABEBF0E
	v_mul_f32_e32 v95, v18, v95                                // 0000000074D0: 0ABEBF12
	v_mul_f32_dpp v92, v44, v92 row_newbcast:12 row_mask:0xf bank_mask:0xf// 0000000074D4: 0AB8B8FA FF015C2C
	v_mul_f32_dpp v93, v44, v93 row_newbcast:13 row_mask:0xf bank_mask:0xf// 0000000074DC: 0ABABAFA FF015D2C
	v_mul_f32_dpp v94, v44, v94 row_newbcast:14 row_mask:0xf bank_mask:0xf// 0000000074E4: 0ABCBCFA FF015E2C
	v_mul_f32_dpp v95, v44, v95 row_newbcast:15 row_mask:0xf bank_mask:0xf// 0000000074EC: 0ABEBEFA FF015F2C
	s_waitcnt vmcnt(12)                                        // 0000000074F4: BF8C0F7C
	buffer_load_dwordx4 a[0:3], v36, s[12:15], 0 offen         // 0000000074F8: E05C1000 80830024
	v_mul_f32_e64 v46, -v128, s6                               // 000000007500: D105002E 20000D80
	v_mul_f32_e64 v47, -v129, s6                               // 000000007508: D105002F 20000D81
	v_mul_f32_e64 v48, -v130, s6                               // 000000007510: D1050030 20000D82
	v_mul_f32_e64 v49, -v131, s6                               // 000000007518: D1050031 20000D83
	v_exp_f32_e32 v46, v46                                     // 000000007520: 7E5C412E
	v_exp_f32_e32 v47, v47                                     // 000000007524: 7E5E412F
	v_exp_f32_e32 v48, v48                                     // 000000007528: 7E604130
	v_exp_f32_e32 v49, v49                                     // 00000000752C: 7E624131
	buffer_load_dwordx4 a[4:7], v37, s[12:15], 0 offen         // 000000007530: E05C1000 80830425
	v_add_f32_e64 v46, v46, 1.0                                // 000000007538: D101002E 0001E52E
	v_add_f32_e64 v47, v47, 1.0                                // 000000007540: D101002F 0001E52F
	v_add_f32_e64 v48, v48, 1.0                                // 000000007548: D1010030 0001E530
	v_add_f32_e64 v49, v49, 1.0                                // 000000007550: D1010031 0001E531
	v_rcp_f32_e32 v46, v46                                     // 000000007558: 7E5C452E
	v_rcp_f32_e32 v47, v47                                     // 00000000755C: 7E5E452F
	v_rcp_f32_e32 v48, v48                                     // 000000007560: 7E604530
	v_rcp_f32_e32 v49, v49                                     // 000000007564: 7E624531
	v_mul_f32_e32 v128, v128, v46                              // 000000007568: 0B005D80
	v_mul_f32_e32 v129, v129, v47                              // 00000000756C: 0B025F81
	v_mul_f32_e32 v130, v130, v48                              // 000000007570: 0B046182
	v_mul_f32_e32 v131, v131, v49                              // 000000007574: 0B066383
	v_mul_f32_e32 v128, v128, v64                              // 000000007578: 0B008180
	v_mul_f32_e32 v129, v129, v65                              // 00000000757C: 0B028381
	v_mul_f32_e32 v130, v130, v66                              // 000000007580: 0B048582
	v_mul_f32_e32 v131, v131, v67                              // 000000007584: 0B068783
	buffer_load_dwordx4 a[8:11], v38, s[12:15], 0 offen        // 000000007588: E05C1000 80830826
	v_mul_f32_e64 v46, -v132, s6                               // 000000007590: D105002E 20000D84
	v_mul_f32_e64 v47, -v133, s6                               // 000000007598: D105002F 20000D85
	v_mul_f32_e64 v48, -v134, s6                               // 0000000075A0: D1050030 20000D86
	v_mul_f32_e64 v49, -v135, s6                               // 0000000075A8: D1050031 20000D87
	v_exp_f32_e32 v46, v46                                     // 0000000075B0: 7E5C412E
	v_exp_f32_e32 v47, v47                                     // 0000000075B4: 7E5E412F
	v_exp_f32_e32 v48, v48                                     // 0000000075B8: 7E604130
	v_exp_f32_e32 v49, v49                                     // 0000000075BC: 7E624131
	buffer_load_dwordx4 a[12:15], v39, s[12:15], 0 offen       // 0000000075C0: E05C1000 80830C27
	s_add_u32 s12, s78, s12                                    // 0000000075C8: 800C0C4E
	s_addc_u32 s13, 0, s13                                     // 0000000075CC: 820D0D80
	v_add_f32_e64 v46, v46, 1.0                                // 0000000075D0: D101002E 0001E52E
	v_add_f32_e64 v47, v47, 1.0                                // 0000000075D8: D101002F 0001E52F
	v_add_f32_e64 v48, v48, 1.0                                // 0000000075E0: D1010030 0001E530
	v_add_f32_e64 v49, v49, 1.0                                // 0000000075E8: D1010031 0001E531
	v_rcp_f32_e32 v46, v46                                     // 0000000075F0: 7E5C452E
	v_rcp_f32_e32 v47, v47                                     // 0000000075F4: 7E5E452F
	v_rcp_f32_e32 v48, v48                                     // 0000000075F8: 7E604530
	v_rcp_f32_e32 v49, v49                                     // 0000000075FC: 7E624531
	v_mul_f32_e32 v132, v132, v46                              // 000000007600: 0B085D84
	v_mul_f32_e32 v133, v133, v47                              // 000000007604: 0B0A5F85
	v_mul_f32_e32 v134, v134, v48                              // 000000007608: 0B0C6186
	v_mul_f32_e32 v135, v135, v49                              // 00000000760C: 0B0E6387
	v_mul_f32_e32 v132, v132, v68                              // 000000007610: 0B088984
	v_mul_f32_e32 v133, v133, v69                              // 000000007614: 0B0A8B85
	v_mul_f32_e32 v134, v134, v70                              // 000000007618: 0B0C8D86
	v_mul_f32_e32 v135, v135, v71                              // 00000000761C: 0B0E8F87
	s_waitcnt vmcnt(12)                                        // 000000007620: BF8C0F7C
	buffer_load_dwordx4 a[16:19], v36, s[12:15], 0 offen       // 000000007624: E05C1000 80831024
	v_mul_f32_e64 v46, -v136, s6                               // 00000000762C: D105002E 20000D88
	v_mul_f32_e64 v47, -v137, s6                               // 000000007634: D105002F 20000D89
	v_mul_f32_e64 v48, -v138, s6                               // 00000000763C: D1050030 20000D8A
	v_mul_f32_e64 v49, -v139, s6                               // 000000007644: D1050031 20000D8B
	v_exp_f32_e32 v46, v46                                     // 00000000764C: 7E5C412E
	v_exp_f32_e32 v47, v47                                     // 000000007650: 7E5E412F
	v_exp_f32_e32 v48, v48                                     // 000000007654: 7E604130
	v_exp_f32_e32 v49, v49                                     // 000000007658: 7E624131
	buffer_load_dwordx4 a[20:23], v37, s[12:15], 0 offen       // 00000000765C: E05C1000 80831425
	v_add_f32_e64 v46, v46, 1.0                                // 000000007664: D101002E 0001E52E
	v_add_f32_e64 v47, v47, 1.0                                // 00000000766C: D101002F 0001E52F
	v_add_f32_e64 v48, v48, 1.0                                // 000000007674: D1010030 0001E530
	v_add_f32_e64 v49, v49, 1.0                                // 00000000767C: D1010031 0001E531
	v_rcp_f32_e32 v46, v46                                     // 000000007684: 7E5C452E
	v_rcp_f32_e32 v47, v47                                     // 000000007688: 7E5E452F
	v_rcp_f32_e32 v48, v48                                     // 00000000768C: 7E604530
	v_rcp_f32_e32 v49, v49                                     // 000000007690: 7E624531
	v_mul_f32_e32 v136, v136, v46                              // 000000007694: 0B105D88
	v_mul_f32_e32 v137, v137, v47                              // 000000007698: 0B125F89
	v_mul_f32_e32 v138, v138, v48                              // 00000000769C: 0B14618A
	v_mul_f32_e32 v139, v139, v49                              // 0000000076A0: 0B16638B
	v_mul_f32_e32 v136, v136, v72                              // 0000000076A4: 0B109188
	v_mul_f32_e32 v137, v137, v73                              // 0000000076A8: 0B129389
	v_mul_f32_e32 v138, v138, v74                              // 0000000076AC: 0B14958A
	v_mul_f32_e32 v139, v139, v75                              // 0000000076B0: 0B16978B
	buffer_load_dwordx4 a[24:27], v38, s[12:15], 0 offen       // 0000000076B4: E05C1000 80831826
	v_mul_f32_e64 v46, -v140, s6                               // 0000000076BC: D105002E 20000D8C
	v_mul_f32_e64 v47, -v141, s6                               // 0000000076C4: D105002F 20000D8D
	v_mul_f32_e64 v48, -v142, s6                               // 0000000076CC: D1050030 20000D8E
	v_mul_f32_e64 v49, -v143, s6                               // 0000000076D4: D1050031 20000D8F
	v_exp_f32_e32 v46, v46                                     // 0000000076DC: 7E5C412E
	v_exp_f32_e32 v47, v47                                     // 0000000076E0: 7E5E412F
	v_exp_f32_e32 v48, v48                                     // 0000000076E4: 7E604130
	v_exp_f32_e32 v49, v49                                     // 0000000076E8: 7E624131
	buffer_load_dwordx4 a[28:31], v39, s[12:15], 0 offen       // 0000000076EC: E05C1000 80831C27
	s_add_u32 s12, s78, s12                                    // 0000000076F4: 800C0C4E
	s_addc_u32 s13, 0, s13                                     // 0000000076F8: 820D0D80
	v_add_f32_e64 v46, v46, 1.0                                // 0000000076FC: D101002E 0001E52E
	v_add_f32_e64 v47, v47, 1.0                                // 000000007704: D101002F 0001E52F
	v_add_f32_e64 v48, v48, 1.0                                // 00000000770C: D1010030 0001E530
	v_add_f32_e64 v49, v49, 1.0                                // 000000007714: D1010031 0001E531
	v_rcp_f32_e32 v46, v46                                     // 00000000771C: 7E5C452E
	v_rcp_f32_e32 v47, v47                                     // 000000007720: 7E5E452F
	v_rcp_f32_e32 v48, v48                                     // 000000007724: 7E604530
	v_rcp_f32_e32 v49, v49                                     // 000000007728: 7E624531
	v_mul_f32_e32 v140, v140, v46                              // 00000000772C: 0B185D8C
	v_mul_f32_e32 v141, v141, v47                              // 000000007730: 0B1A5F8D
	v_mul_f32_e32 v142, v142, v48                              // 000000007734: 0B1C618E
	v_mul_f32_e32 v143, v143, v49                              // 000000007738: 0B1E638F
	v_mul_f32_e32 v140, v140, v76                              // 00000000773C: 0B18998C
	v_mul_f32_e32 v141, v141, v77                              // 000000007740: 0B1A9B8D
	v_mul_f32_e32 v142, v142, v78                              // 000000007744: 0B1C9D8E
	v_mul_f32_e32 v143, v143, v79                              // 000000007748: 0B1E9F8F
	s_waitcnt vmcnt(12)                                        // 00000000774C: BF8C0F7C
	buffer_load_dwordx4 a[32:35], v36, s[12:15], 0 offen       // 000000007750: E05C1000 80832024
	v_mul_f32_e64 v46, -v144, s6                               // 000000007758: D105002E 20000D90
	v_mul_f32_e64 v47, -v145, s6                               // 000000007760: D105002F 20000D91
	v_mul_f32_e64 v48, -v146, s6                               // 000000007768: D1050030 20000D92
	v_mul_f32_e64 v49, -v147, s6                               // 000000007770: D1050031 20000D93
	v_exp_f32_e32 v46, v46                                     // 000000007778: 7E5C412E
	v_exp_f32_e32 v47, v47                                     // 00000000777C: 7E5E412F
	v_exp_f32_e32 v48, v48                                     // 000000007780: 7E604130
	v_exp_f32_e32 v49, v49                                     // 000000007784: 7E624131
	buffer_load_dwordx4 a[36:39], v37, s[12:15], 0 offen       // 000000007788: E05C1000 80832425
	v_add_f32_e64 v46, v46, 1.0                                // 000000007790: D101002E 0001E52E
	v_add_f32_e64 v47, v47, 1.0                                // 000000007798: D101002F 0001E52F
	v_add_f32_e64 v48, v48, 1.0                                // 0000000077A0: D1010030 0001E530
	v_add_f32_e64 v49, v49, 1.0                                // 0000000077A8: D1010031 0001E531
	v_rcp_f32_e32 v46, v46                                     // 0000000077B0: 7E5C452E
	v_rcp_f32_e32 v47, v47                                     // 0000000077B4: 7E5E452F
	v_rcp_f32_e32 v48, v48                                     // 0000000077B8: 7E604530
	v_rcp_f32_e32 v49, v49                                     // 0000000077BC: 7E624531
	v_mul_f32_e32 v144, v144, v46                              // 0000000077C0: 0B205D90
	v_mul_f32_e32 v145, v145, v47                              // 0000000077C4: 0B225F91
	v_mul_f32_e32 v146, v146, v48                              // 0000000077C8: 0B246192
	v_mul_f32_e32 v147, v147, v49                              // 0000000077CC: 0B266393
	v_mul_f32_e32 v144, v144, v80                              // 0000000077D0: 0B20A190
	v_mul_f32_e32 v145, v145, v81                              // 0000000077D4: 0B22A391
	v_mul_f32_e32 v146, v146, v82                              // 0000000077D8: 0B24A592
	v_mul_f32_e32 v147, v147, v83                              // 0000000077DC: 0B26A793
	buffer_load_dwordx4 a[40:43], v38, s[12:15], 0 offen       // 0000000077E0: E05C1000 80832826
	v_mul_f32_e64 v46, -v148, s6                               // 0000000077E8: D105002E 20000D94
	v_mul_f32_e64 v47, -v149, s6                               // 0000000077F0: D105002F 20000D95
	v_mul_f32_e64 v48, -v150, s6                               // 0000000077F8: D1050030 20000D96
	v_mul_f32_e64 v49, -v151, s6                               // 000000007800: D1050031 20000D97
	v_exp_f32_e32 v46, v46                                     // 000000007808: 7E5C412E
	v_exp_f32_e32 v47, v47                                     // 00000000780C: 7E5E412F
	v_exp_f32_e32 v48, v48                                     // 000000007810: 7E604130
	v_exp_f32_e32 v49, v49                                     // 000000007814: 7E624131
	buffer_load_dwordx4 a[44:47], v39, s[12:15], 0 offen       // 000000007818: E05C1000 80832C27
	s_add_u32 s12, s78, s12                                    // 000000007820: 800C0C4E
	s_addc_u32 s13, 0, s13                                     // 000000007824: 820D0D80
	v_add_f32_e64 v46, v46, 1.0                                // 000000007828: D101002E 0001E52E
	v_add_f32_e64 v47, v47, 1.0                                // 000000007830: D101002F 0001E52F
	v_add_f32_e64 v48, v48, 1.0                                // 000000007838: D1010030 0001E530
	v_add_f32_e64 v49, v49, 1.0                                // 000000007840: D1010031 0001E531
	v_rcp_f32_e32 v46, v46                                     // 000000007848: 7E5C452E
	v_rcp_f32_e32 v47, v47                                     // 00000000784C: 7E5E452F
	v_rcp_f32_e32 v48, v48                                     // 000000007850: 7E604530
	v_rcp_f32_e32 v49, v49                                     // 000000007854: 7E624531
	v_mul_f32_e32 v148, v148, v46                              // 000000007858: 0B285D94
	v_mul_f32_e32 v149, v149, v47                              // 00000000785C: 0B2A5F95
	v_mul_f32_e32 v150, v150, v48                              // 000000007860: 0B2C6196
	v_mul_f32_e32 v151, v151, v49                              // 000000007864: 0B2E6397
	v_mul_f32_e32 v148, v148, v84                              // 000000007868: 0B28A994
	v_mul_f32_e32 v149, v149, v85                              // 00000000786C: 0B2AAB95
	v_mul_f32_e32 v150, v150, v86                              // 000000007870: 0B2CAD96
	v_mul_f32_e32 v151, v151, v87                              // 000000007874: 0B2EAF97
	s_waitcnt vmcnt(12)                                        // 000000007878: BF8C0F7C
	buffer_load_dwordx4 a[48:51], v36, s[12:15], 0 offen       // 00000000787C: E05C1000 80833024
	v_mul_f32_e64 v46, -v152, s6                               // 000000007884: D105002E 20000D98
	v_mul_f32_e64 v47, -v153, s6                               // 00000000788C: D105002F 20000D99
	v_mul_f32_e64 v48, -v154, s6                               // 000000007894: D1050030 20000D9A
	v_mul_f32_e64 v49, -v155, s6                               // 00000000789C: D1050031 20000D9B
	v_exp_f32_e32 v46, v46                                     // 0000000078A4: 7E5C412E
	v_exp_f32_e32 v47, v47                                     // 0000000078A8: 7E5E412F
	v_exp_f32_e32 v48, v48                                     // 0000000078AC: 7E604130
	v_exp_f32_e32 v49, v49                                     // 0000000078B0: 7E624131
	buffer_load_dwordx4 a[52:55], v37, s[12:15], 0 offen       // 0000000078B4: E05C1000 80833425
	v_add_f32_e64 v46, v46, 1.0                                // 0000000078BC: D101002E 0001E52E
	v_add_f32_e64 v47, v47, 1.0                                // 0000000078C4: D101002F 0001E52F
	v_add_f32_e64 v48, v48, 1.0                                // 0000000078CC: D1010030 0001E530
	v_add_f32_e64 v49, v49, 1.0                                // 0000000078D4: D1010031 0001E531
	v_rcp_f32_e32 v46, v46                                     // 0000000078DC: 7E5C452E
	v_rcp_f32_e32 v47, v47                                     // 0000000078E0: 7E5E452F
	v_rcp_f32_e32 v48, v48                                     // 0000000078E4: 7E604530
	v_rcp_f32_e32 v49, v49                                     // 0000000078E8: 7E624531
	v_mul_f32_e32 v152, v152, v46                              // 0000000078EC: 0B305D98
	v_mul_f32_e32 v153, v153, v47                              // 0000000078F0: 0B325F99
	v_mul_f32_e32 v154, v154, v48                              // 0000000078F4: 0B34619A
	v_mul_f32_e32 v155, v155, v49                              // 0000000078F8: 0B36639B
	v_mul_f32_e32 v152, v152, v88                              // 0000000078FC: 0B30B198
	v_mul_f32_e32 v153, v153, v89                              // 000000007900: 0B32B399
	v_mul_f32_e32 v154, v154, v90                              // 000000007904: 0B34B59A
	v_mul_f32_e32 v155, v155, v91                              // 000000007908: 0B36B79B
	buffer_load_dwordx4 a[56:59], v38, s[12:15], 0 offen       // 00000000790C: E05C1000 80833826
	v_mul_f32_e64 v46, -v156, s6                               // 000000007914: D105002E 20000D9C
	v_mul_f32_e64 v47, -v157, s6                               // 00000000791C: D105002F 20000D9D
	v_mul_f32_e64 v48, -v158, s6                               // 000000007924: D1050030 20000D9E
	v_mul_f32_e64 v49, -v159, s6                               // 00000000792C: D1050031 20000D9F
	v_exp_f32_e32 v46, v46                                     // 000000007934: 7E5C412E
	v_exp_f32_e32 v47, v47                                     // 000000007938: 7E5E412F
	v_exp_f32_e32 v48, v48                                     // 00000000793C: 7E604130
	v_exp_f32_e32 v49, v49                                     // 000000007940: 7E624131
	buffer_load_dwordx4 a[60:63], v39, s[12:15], 0 offen       // 000000007944: E05C1000 80833C27
	v_add_f32_e64 v46, v46, 1.0                                // 00000000794C: D101002E 0001E52E
	v_add_f32_e64 v47, v47, 1.0                                // 000000007954: D101002F 0001E52F
	v_add_f32_e64 v48, v48, 1.0                                // 00000000795C: D1010030 0001E530
	v_add_f32_e64 v49, v49, 1.0                                // 000000007964: D1010031 0001E531
	v_rcp_f32_e32 v46, v46                                     // 00000000796C: 7E5C452E
	v_rcp_f32_e32 v47, v47                                     // 000000007970: 7E5E452F
	v_rcp_f32_e32 v48, v48                                     // 000000007974: 7E604530
	v_rcp_f32_e32 v49, v49                                     // 000000007978: 7E624531
	v_mul_f32_e32 v156, v156, v46                              // 00000000797C: 0B385D9C
	v_mul_f32_e32 v157, v157, v47                              // 000000007980: 0B3A5F9D
	v_mul_f32_e32 v158, v158, v48                              // 000000007984: 0B3C619E
	v_mul_f32_e32 v159, v159, v49                              // 000000007988: 0B3E639F
	v_mul_f32_e32 v156, v156, v92                              // 00000000798C: 0B38B99C
	v_mul_f32_e32 v157, v157, v93                              // 000000007990: 0B3ABB9D
	v_mul_f32_e32 v158, v158, v94                              // 000000007994: 0B3CBD9E
	v_mul_f32_e32 v159, v159, v95                              // 000000007998: 0B3EBF9F
	v_lshlrev_b32_e32 v46, 2, v0                               // 00000000799C: 245C0082
	s_mul_i32 s60, s82, s71                                    // 0000000079A0: 923C4752
	v_add_u32_e64 v80, v46, s60                                // 0000000079A4: D1340050 0000792E
	v_mov_b32_e32 v81, 0                                       // 0000000079AC: 7EA20280
	s_mul_i32 s60, s83, s71                                    // 0000000079B0: 923C4753
	v_add_u32_e64 v82, v46, s60                                // 0000000079B4: D1340052 0000792E
	v_mov_b32_e32 v83, 0                                       // 0000000079BC: 7EA60280
	s_mul_i32 s60, s84, s71                                    // 0000000079C0: 923C4754
	v_add_u32_e64 v84, v46, s60                                // 0000000079C4: D1340054 0000792E
	v_mov_b32_e32 v85, 0                                       // 0000000079CC: 7EAA0280
	s_mul_i32 s60, s85, s71                                    // 0000000079D0: 923C4755
	v_add_u32_e64 v86, v46, s60                                // 0000000079D4: D1340056 0000792E
	v_mov_b32_e32 v87, 0                                       // 0000000079DC: 7EAE0280
	s_mul_i32 s60, s86, s71                                    // 0000000079E0: 923C4756
	v_add_u32_e64 v88, v46, s60                                // 0000000079E4: D1340058 0000792E
	v_mov_b32_e32 v89, 0                                       // 0000000079EC: 7EB20280
	s_mul_i32 s60, s87, s71                                    // 0000000079F0: 923C4757
	v_add_u32_e64 v90, v46, s60                                // 0000000079F4: D134005A 0000792E
	v_mov_b32_e32 v91, 0                                       // 0000000079FC: 7EB60280
	s_mul_i32 s60, s88, s71                                    // 000000007A00: 923C4758
	v_add_u32_e64 v92, v46, s60                                // 000000007A04: D134005C 0000792E
	v_mov_b32_e32 v93, 0                                       // 000000007A0C: 7EBA0280
	s_mul_i32 s60, s89, s71                                    // 000000007A10: 923C4759
	v_add_u32_e64 v94, v46, s60                                // 000000007A14: D134005E 0000792E
	v_mov_b32_e32 v95, 0                                       // 000000007A1C: 7EBE0280
	buffer_load_dword v11, v5, s[16:19], 0 offen               // 000000007A20: E0501000 80040B05
	v_mov_b32_e32 v20, 0x358637bd                              // 000000007A28: 7E2802FF 358637BD
	v_mov_b32_e32 v21, 0x358637bd                              // 000000007A30: 7E2A02FF 358637BD
	v_max3_f32 v20, |v128|, |v129|, v20                        // 000000007A38: D1D30314 04530380
	v_max3_f32 v20, |v130|, |v131|, v20                        // 000000007A40: D1D30314 04530782
	v_max3_f32 v21, |v132|, |v133|, v21                        // 000000007A48: D1D30315 04570B84
	v_max3_f32 v21, |v134|, |v135|, v21                        // 000000007A50: D1D30315 04570F86
	v_max3_f32 v20, |v136|, |v137|, v20                        // 000000007A58: D1D30314 04531388
	v_max3_f32 v20, |v138|, |v139|, v20                        // 000000007A60: D1D30314 0453178A
	v_max3_f32 v21, |v140|, |v141|, v21                        // 000000007A68: D1D30315 04571B8C
	v_max3_f32 v21, |v142|, |v143|, v21                        // 000000007A70: D1D30315 04571F8E
	v_max3_f32 v20, |v144|, |v145|, v20                        // 000000007A78: D1D30314 04532390
	v_max3_f32 v20, |v146|, |v147|, v20                        // 000000007A80: D1D30314 04532792
	v_max3_f32 v21, |v148|, |v149|, v21                        // 000000007A88: D1D30315 04572B94
	v_max3_f32 v21, |v150|, |v151|, v21                        // 000000007A90: D1D30315 04572F96
	v_max3_f32 v20, |v152|, |v153|, v20                        // 000000007A98: D1D30314 04533398
	v_max3_f32 v20, |v154|, |v155|, v20                        // 000000007AA0: D1D30314 0453379A
	v_max3_f32 v21, |v156|, |v157|, v21                        // 000000007AA8: D1D30315 04573B9C
	v_max3_f32 v21, |v158|, |v159|, v21                        // 000000007AB0: D1D30315 04573F9E
	v_lshlrev_b32_e32 v46, 3, v0                               // 000000007AB8: 245C0083
	s_mul_i32 s60, 0x200, s7                                   // 000000007ABC: 923C07FF 00000200
	v_add_u32_e32 v46, s60, v46                                // 000000007AC4: 685C5C3C
	ds_write_b64 v46, v[20:21] offset:16640                    // 000000007AC8: D89A4100 0000142E
	s_waitcnt lgkmcnt(0)                                       // 000000007AD0: BF8CC07F
	s_barrier                                                  // 000000007AD4: BF8A0000
	v_and_b32_e32 v46, 15, v0                                  // 000000007AD8: 265C008F
	v_lshlrev_b32_e32 v46, 3, v46                              // 000000007ADC: 245C5C83
	ds_read_b64 v[96:97], v46 offset:16640                     // 000000007AE0: D8EC4100 6000002E
	ds_read_b64 v[98:99], v46 offset:16768                     // 000000007AE8: D8EC4180 6200002E
	ds_read_b64 v[100:101], v46 offset:16896                   // 000000007AF0: D8EC4200 6400002E
	ds_read_b64 v[102:103], v46 offset:17024                   // 000000007AF8: D8EC4280 6600002E
	ds_read_b64 v[104:105], v46 offset:17152                   // 000000007B00: D8EC4300 6800002E
	ds_read_b64 v[106:107], v46 offset:17280                   // 000000007B08: D8EC4380 6A00002E
	ds_read_b64 v[108:109], v46 offset:17408                   // 000000007B10: D8EC4400 6C00002E
	ds_read_b64 v[110:111], v46 offset:17536                   // 000000007B18: D8EC4480 6E00002E
	ds_read_b64 v[112:113], v46 offset:17664                   // 000000007B20: D8EC4500 7000002E
	ds_read_b64 v[114:115], v46 offset:17792                   // 000000007B28: D8EC4580 7200002E
	ds_read_b64 v[116:117], v46 offset:17920                   // 000000007B30: D8EC4600 7400002E
	ds_read_b64 v[118:119], v46 offset:18048                   // 000000007B38: D8EC4680 7600002E
	ds_read_b64 v[120:121], v46 offset:18176                   // 000000007B40: D8EC4700 7800002E
	ds_read_b64 v[122:123], v46 offset:18304                   // 000000007B48: D8EC4780 7A00002E
	ds_read_b64 v[124:125], v46 offset:18432                   // 000000007B50: D8EC4800 7C00002E
	ds_read_b64 v[126:127], v46 offset:18560                   // 000000007B58: D8EC4880 7E00002E
	s_waitcnt lgkmcnt(0)                                       // 000000007B60: BF8CC07F
	v_max3_f32 v20, |v96|, |v98|, v20                          // 000000007B64: D1D30314 0452C560
	v_max3_f32 v21, |v97|, |v99|, v21                          // 000000007B6C: D1D30315 0456C761
	v_max3_f32 v20, |v100|, |v102|, v20                        // 000000007B74: D1D30314 0452CD64
	v_max3_f32 v21, |v101|, |v103|, v21                        // 000000007B7C: D1D30315 0456CF65
	v_max3_f32 v20, |v104|, |v106|, v20                        // 000000007B84: D1D30314 0452D568
	v_max3_f32 v21, |v105|, |v107|, v21                        // 000000007B8C: D1D30315 0456D769
	v_max3_f32 v20, |v108|, |v110|, v20                        // 000000007B94: D1D30314 0452DD6C
	v_max3_f32 v21, |v109|, |v111|, v21                        // 000000007B9C: D1D30315 0456DF6D
	v_max3_f32 v20, |v112|, |v114|, v20                        // 000000007BA4: D1D30314 0452E570
	v_max3_f32 v21, |v113|, |v115|, v21                        // 000000007BAC: D1D30315 0456E771
	v_max3_f32 v20, |v116|, |v118|, v20                        // 000000007BB4: D1D30314 0452ED74
	v_max3_f32 v21, |v117|, |v119|, v21                        // 000000007BBC: D1D30315 0456EF75
	v_max3_f32 v20, |v120|, |v122|, v20                        // 000000007BC4: D1D30314 0452F578
	v_max3_f32 v21, |v121|, |v123|, v21                        // 000000007BCC: D1D30315 0456F779
	v_max3_f32 v20, |v124|, |v126|, v20                        // 000000007BD4: D1D30314 0452FD7C
	v_max3_f32 v21, |v125|, |v127|, v21                        // 000000007BDC: D1D30315 0456FF7D
	v_rcp_f32_e32 v20, v20                                     // 000000007BE4: 7E284514
	v_rcp_f32_e32 v21, v21                                     // 000000007BE8: 7E2A4515
	v_mov_b32_e32 v46, 0x43700000                              // 000000007BEC: 7E5C02FF 43700000
	v_mul_f32_e32 v20, v46, v20                                // 000000007BF4: 0A28292E
	v_mul_f32_e32 v21, v46, v21                                // 000000007BF8: 0A2A2B2E
	v_mul_f32_e32 v128, v20, v128                              // 000000007BFC: 0B010114
	v_mul_f32_e32 v129, v20, v129                              // 000000007C00: 0B030314
	v_mul_f32_e32 v130, v20, v130                              // 000000007C04: 0B050514
	v_mul_f32_e32 v131, v20, v131                              // 000000007C08: 0B070714
	v_cvt_pk_fp8_f32 v128, v128, v129                          // 000000007C0C: D2A20080 00030380
	v_cvt_pk_fp8_f32 v128, v130, v131 op_sel:[0,0,1]           // 000000007C14: D2A24080 00030782
	v_mul_f32_e32 v132, v21, v132                              // 000000007C1C: 0B090915
	v_mul_f32_e32 v133, v21, v133                              // 000000007C20: 0B0B0B15
	v_mul_f32_e32 v134, v21, v134                              // 000000007C24: 0B0D0D15
	v_mul_f32_e32 v135, v21, v135                              // 000000007C28: 0B0F0F15
	v_cvt_pk_fp8_f32 v129, v132, v133                          // 000000007C2C: D2A20081 00030B84
	v_cvt_pk_fp8_f32 v129, v134, v135 op_sel:[0,0,1]           // 000000007C34: D2A24081 00030F86
	v_mul_f32_e32 v136, v20, v136                              // 000000007C3C: 0B111114
	v_mul_f32_e32 v137, v20, v137                              // 000000007C40: 0B131314
	v_mul_f32_e32 v138, v20, v138                              // 000000007C44: 0B151514
	v_mul_f32_e32 v139, v20, v139                              // 000000007C48: 0B171714
	v_cvt_pk_fp8_f32 v130, v136, v137                          // 000000007C4C: D2A20082 00031388
	v_cvt_pk_fp8_f32 v130, v138, v139 op_sel:[0,0,1]           // 000000007C54: D2A24082 0003178A
	v_mul_f32_e32 v140, v21, v140                              // 000000007C5C: 0B191915
	v_mul_f32_e32 v141, v21, v141                              // 000000007C60: 0B1B1B15
	v_mul_f32_e32 v142, v21, v142                              // 000000007C64: 0B1D1D15
	v_mul_f32_e32 v143, v21, v143                              // 000000007C68: 0B1F1F15
	v_cvt_pk_fp8_f32 v131, v140, v141                          // 000000007C6C: D2A20083 00031B8C
	v_cvt_pk_fp8_f32 v131, v142, v143 op_sel:[0,0,1]           // 000000007C74: D2A24083 00031F8E
	v_mul_f32_e32 v144, v20, v144                              // 000000007C7C: 0B212114
	v_mul_f32_e32 v145, v20, v145                              // 000000007C80: 0B232314
	v_mul_f32_e32 v146, v20, v146                              // 000000007C84: 0B252514
	v_mul_f32_e32 v147, v20, v147                              // 000000007C88: 0B272714
	v_cvt_pk_fp8_f32 v132, v144, v145                          // 000000007C8C: D2A20084 00032390
	v_cvt_pk_fp8_f32 v132, v146, v147 op_sel:[0,0,1]           // 000000007C94: D2A24084 00032792
	v_mul_f32_e32 v148, v21, v148                              // 000000007C9C: 0B292915
	v_mul_f32_e32 v149, v21, v149                              // 000000007CA0: 0B2B2B15
	v_mul_f32_e32 v150, v21, v150                              // 000000007CA4: 0B2D2D15
	v_mul_f32_e32 v151, v21, v151                              // 000000007CA8: 0B2F2F15
	v_cvt_pk_fp8_f32 v133, v148, v149                          // 000000007CAC: D2A20085 00032B94
	v_cvt_pk_fp8_f32 v133, v150, v151 op_sel:[0,0,1]           // 000000007CB4: D2A24085 00032F96
	v_mul_f32_e32 v152, v20, v152                              // 000000007CBC: 0B313114
	v_mul_f32_e32 v153, v20, v153                              // 000000007CC0: 0B333314
	v_mul_f32_e32 v154, v20, v154                              // 000000007CC4: 0B353514
	v_mul_f32_e32 v155, v20, v155                              // 000000007CC8: 0B373714
	v_cvt_pk_fp8_f32 v134, v152, v153                          // 000000007CCC: D2A20086 00033398
	v_cvt_pk_fp8_f32 v134, v154, v155 op_sel:[0,0,1]           // 000000007CD4: D2A24086 0003379A
	v_mul_f32_e32 v156, v21, v156                              // 000000007CDC: 0B393915
	v_mul_f32_e32 v157, v21, v157                              // 000000007CE0: 0B3B3B15
	v_mul_f32_e32 v158, v21, v158                              // 000000007CE4: 0B3D3D15
	v_mul_f32_e32 v159, v21, v159                              // 000000007CE8: 0B3F3F15
	v_cvt_pk_fp8_f32 v135, v156, v157                          // 000000007CEC: D2A20087 00033B9C
	v_cvt_pk_fp8_f32 v135, v158, v159 op_sel:[0,0,1]           // 000000007CF4: D2A24087 00033F9E
	v_rcp_f32_e32 v22, v20                                     // 000000007CFC: 7E2C4514
	v_rcp_f32_e32 v23, v21                                     // 000000007D00: 7E2E4515
	v_lshrrev_b32_e32 v46, 5, v0                               // 000000007D04: 205C0085
	v_lshlrev_b32_e32 v47, 5, v46                              // 000000007D08: 245E5C85
	v_and_b32_e32 v46, 31, v0                                  // 000000007D0C: 265C009F
	v_lshrrev_b32_e32 v48, 4, v46                              // 000000007D10: 20605C84
	v_add_u32_e32 v47, v48, v47                                // 000000007D14: 685E5F30
	v_and_b32_e32 v46, 15, v0                                  // 000000007D18: 265C008F
	v_lshlrev_b32_e32 v46, 1, v46                              // 000000007D1C: 245C5C81
	v_add_u32_e32 v47, v46, v47                                // 000000007D20: 685E5F2E
	v_lshlrev_b32_e32 v46, 2, v47                              // 000000007D24: 245C5E82
	s_mul_i32 s60, 0x100, s7                                   // 000000007D28: 923C07FF 00000100
	v_add_u32_e64 v46, v46, s60                                // 000000007D30: D134002E 0000792E
	ds_write_b32 v46, v128 offset:18688                        // 000000007D38: D81A4900 0000802E
	ds_write_b32 v46, v129 offset:22784                        // 000000007D40: D81A5900 0000812E
	ds_write_b32 v46, v130 offset:19712                        // 000000007D48: D81A4D00 0000822E
	ds_write_b32 v46, v131 offset:23808                        // 000000007D50: D81A5D00 0000832E
	ds_write_b32 v46, v132 offset:20736                        // 000000007D58: D81A5100 0000842E
	ds_write_b32 v46, v133 offset:24832                        // 000000007D60: D81A6100 0000852E
	ds_write_b32 v46, v134 offset:21760                        // 000000007D68: D81A5500 0000862E
	ds_write_b32 v46, v135 offset:25856                        // 000000007D70: D81A6500 0000872E
	s_waitcnt lgkmcnt(0)                                       // 000000007D78: BF8CC07F
	s_barrier                                                  // 000000007D7C: BF8A0000
	v_lshrrev_b32_e32 v46, 4, v0                               // 000000007D80: 205C0084
	v_lshlrev_b32_e32 v47, 6, v46                              // 000000007D84: 245E5C86
	v_and_b32_e32 v46, 15, v0                                  // 000000007D88: 265C008F
	v_lshlrev_b32_e32 v46, 1, v46                              // 000000007D8C: 245C5C81
	v_add_u32_e32 v47, v46, v47                                // 000000007D90: 685E5F2E
	v_lshlrev_b32_e32 v46, 2, v47                              // 000000007D94: 245C5E82
	ds_read_b64 v[128:129], v46 offset:18688                   // 000000007D98: D8EC4900 8000002E
	ds_read_b64 v[130:131], v46 offset:18816                   // 000000007DA0: D8EC4980 8200002E
	ds_read_b64 v[132:133], v46 offset:19712                   // 000000007DA8: D8EC4D00 8400002E
	ds_read_b64 v[134:135], v46 offset:19840                   // 000000007DB0: D8EC4D80 8600002E
	ds_read_b64 v[136:137], v46 offset:20736                   // 000000007DB8: D8EC5100 8800002E
	ds_read_b64 v[138:139], v46 offset:20864                   // 000000007DC0: D8EC5180 8A00002E
	ds_read_b64 v[140:141], v46 offset:21760                   // 000000007DC8: D8EC5500 8C00002E
	ds_read_b64 v[142:143], v46 offset:21888                   // 000000007DD0: D8EC5580 8E00002E
	ds_read_b64 v[144:145], v46 offset:22784                   // 000000007DD8: D8EC5900 9000002E
	ds_read_b64 v[146:147], v46 offset:22912                   // 000000007DE0: D8EC5980 9200002E
	ds_read_b64 v[148:149], v46 offset:23808                   // 000000007DE8: D8EC5D00 9400002E
	ds_read_b64 v[150:151], v46 offset:23936                   // 000000007DF0: D8EC5D80 9600002E
	ds_read_b64 v[152:153], v46 offset:24832                   // 000000007DF8: D8EC6100 9800002E
	ds_read_b64 v[154:155], v46 offset:24960                   // 000000007E00: D8EC6180 9A00002E
	ds_read_b64 v[156:157], v46 offset:25856                   // 000000007E08: D8EC6500 9C00002E
	ds_read_b64 v[158:159], v46 offset:25984                   // 000000007E10: D8EC6580 9E00002E
	s_add_u32 s12, s56, s12                                    // 000000007E18: 800C0C38
	s_addc_u32 s13, 0, s13                                     // 000000007E1C: 820D0D80
	s_add_u32 s16, s79, s16                                    // 000000007E20: 8010104F
	s_addc_u32 s17, 0, s17                                     // 000000007E24: 82111180
	s_mov_b32 s80, 0                                           // 000000007E28: BED00080
	s_waitcnt vmcnt(0) expcnt(0) lgkmcnt(0)                    // 000000007E2C: BF8C0000

0000000000007e30 <label_140C>:
	s_waitcnt vmcnt(29)                                        // 000000007E30: BF8C4F7D
	s_barrier                                                  // 000000007E34: BF8A0000
	v_mfma_f32_16x16x32_fp8_fp8 v[160:163], a[0:1], v[128:129], 0// 000000007E38: D3F300A0 0A030100
	buffer_load_dwordx4 a[64:67], v36, s[12:15], 0 offen       // 000000007E40: E05C1000 80834024
	v_mfma_f32_16x16x32_fp8_fp8 v[160:163], a[2:3], v[130:131], v[160:163]// 000000007E48: D3F300A0 0E830502
	v_mfma_f32_16x16x32_fp8_fp8 v[164:167], a[0:1], v[144:145], 0// 000000007E50: D3F300A4 0A032100
	v_mfma_f32_16x16x32_fp8_fp8 v[164:167], a[2:3], v[146:147], v[164:167]// 000000007E58: D3F300A4 0E932502
	v_mfma_f32_16x16x32_fp8_fp8 v[168:171], a[4:5], v[128:129], 0// 000000007E60: D3F300A8 0A030104
	buffer_load_dwordx4 a[68:71], v37, s[12:15], 0 offen       // 000000007E68: E05C1000 80834425
	v_mfma_f32_16x16x32_fp8_fp8 v[168:171], a[6:7], v[130:131], v[168:171]// 000000007E70: D3F300A8 0EA30506
	v_mfma_f32_16x16x32_fp8_fp8 v[172:175], a[4:5], v[144:145], 0// 000000007E78: D3F300AC 0A032104
	v_mfma_f32_16x16x32_fp8_fp8 v[172:175], a[6:7], v[146:147], v[172:175]// 000000007E80: D3F300AC 0EB32506
	v_mfma_f32_16x16x32_fp8_fp8 v[176:179], a[8:9], v[128:129], 0// 000000007E88: D3F300B0 0A030108
	buffer_load_dwordx4 a[72:75], v38, s[12:15], 0 offen       // 000000007E90: E05C1000 80834826
	v_mfma_f32_16x16x32_fp8_fp8 v[176:179], a[10:11], v[130:131], v[176:179]// 000000007E98: D3F300B0 0EC3050A
	v_mfma_f32_16x16x32_fp8_fp8 v[180:183], a[8:9], v[144:145], 0// 000000007EA0: D3F300B4 0A032108
	v_mfma_f32_16x16x32_fp8_fp8 v[180:183], a[10:11], v[146:147], v[180:183]// 000000007EA8: D3F300B4 0ED3250A
	v_mfma_f32_16x16x32_fp8_fp8 v[184:187], a[12:13], v[128:129], 0// 000000007EB0: D3F300B8 0A03010C
	buffer_load_dwordx4 a[76:79], v39, s[12:15], 0 offen       // 000000007EB8: E05C1000 80834C27
	s_add_u32 s12, s78, s12                                    // 000000007EC0: 800C0C4E
	s_addc_u32 s13, 0, s13                                     // 000000007EC4: 820D0D80
	v_mfma_f32_16x16x32_fp8_fp8 v[184:187], a[14:15], v[130:131], v[184:187]// 000000007EC8: D3F300B8 0EE3050E
	v_mfma_f32_16x16x32_fp8_fp8 v[188:191], a[12:13], v[144:145], 0// 000000007ED0: D3F300BC 0A03210C
	v_mfma_f32_16x16x32_fp8_fp8 v[188:191], a[14:15], v[146:147], v[188:191]// 000000007ED8: D3F300BC 0EF3250E
	s_waitcnt vmcnt(29)                                        // 000000007EE0: BF8C4F7D
	v_mfma_f32_16x16x32_fp8_fp8 v[160:163], a[16:17], v[132:133], v[160:163]// 000000007EE4: D3F300A0 0E830910
	buffer_load_dwordx4 a[80:83], v36, s[12:15], 0 offen       // 000000007EEC: E05C1000 80835024
	v_mfma_f32_16x16x32_fp8_fp8 v[160:163], a[18:19], v[134:135], v[160:163]// 000000007EF4: D3F300A0 0E830D12
	v_mfma_f32_16x16x32_fp8_fp8 v[164:167], a[16:17], v[148:149], v[164:167]// 000000007EFC: D3F300A4 0E932910
	v_mfma_f32_16x16x32_fp8_fp8 v[164:167], a[18:19], v[150:151], v[164:167]// 000000007F04: D3F300A4 0E932D12
	v_mfma_f32_16x16x32_fp8_fp8 v[168:171], a[20:21], v[132:133], v[168:171]// 000000007F0C: D3F300A8 0EA30914
	buffer_load_dwordx4 a[84:87], v37, s[12:15], 0 offen       // 000000007F14: E05C1000 80835425
	v_mfma_f32_16x16x32_fp8_fp8 v[168:171], a[22:23], v[134:135], v[168:171]// 000000007F1C: D3F300A8 0EA30D16
	v_mfma_f32_16x16x32_fp8_fp8 v[172:175], a[20:21], v[148:149], v[172:175]// 000000007F24: D3F300AC 0EB32914
	v_mfma_f32_16x16x32_fp8_fp8 v[172:175], a[22:23], v[150:151], v[172:175]// 000000007F2C: D3F300AC 0EB32D16
	v_mfma_f32_16x16x32_fp8_fp8 v[176:179], a[24:25], v[132:133], v[176:179]// 000000007F34: D3F300B0 0EC30918
	buffer_load_dwordx4 a[88:91], v38, s[12:15], 0 offen       // 000000007F3C: E05C1000 80835826
	v_mfma_f32_16x16x32_fp8_fp8 v[176:179], a[26:27], v[134:135], v[176:179]// 000000007F44: D3F300B0 0EC30D1A
	v_mfma_f32_16x16x32_fp8_fp8 v[180:183], a[24:25], v[148:149], v[180:183]// 000000007F4C: D3F300B4 0ED32918
	v_mfma_f32_16x16x32_fp8_fp8 v[180:183], a[26:27], v[150:151], v[180:183]// 000000007F54: D3F300B4 0ED32D1A
	v_mfma_f32_16x16x32_fp8_fp8 v[184:187], a[28:29], v[132:133], v[184:187]// 000000007F5C: D3F300B8 0EE3091C
	buffer_load_dwordx4 a[92:95], v39, s[12:15], 0 offen       // 000000007F64: E05C1000 80835C27
	s_add_u32 s12, s78, s12                                    // 000000007F6C: 800C0C4E
	s_addc_u32 s13, 0, s13                                     // 000000007F70: 820D0D80
	v_mfma_f32_16x16x32_fp8_fp8 v[184:187], a[30:31], v[134:135], v[184:187]// 000000007F74: D3F300B8 0EE30D1E
	v_mfma_f32_16x16x32_fp8_fp8 v[188:191], a[28:29], v[148:149], v[188:191]// 000000007F7C: D3F300BC 0EF3291C
	v_mfma_f32_16x16x32_fp8_fp8 v[188:191], a[30:31], v[150:151], v[188:191]// 000000007F84: D3F300BC 0EF32D1E
	s_waitcnt vmcnt(29)                                        // 000000007F8C: BF8C4F7D
	v_mfma_f32_16x16x32_fp8_fp8 v[160:163], a[32:33], v[136:137], v[160:163]// 000000007F90: D3F300A0 0E831120
	buffer_load_dwordx4 a[96:99], v36, s[12:15], 0 offen       // 000000007F98: E05C1000 80836024
	v_mfma_f32_16x16x32_fp8_fp8 v[160:163], a[34:35], v[138:139], v[160:163]// 000000007FA0: D3F300A0 0E831522
	v_mfma_f32_16x16x32_fp8_fp8 v[164:167], a[32:33], v[152:153], v[164:167]// 000000007FA8: D3F300A4 0E933120
	v_mfma_f32_16x16x32_fp8_fp8 v[164:167], a[34:35], v[154:155], v[164:167]// 000000007FB0: D3F300A4 0E933522
	v_mfma_f32_16x16x32_fp8_fp8 v[168:171], a[36:37], v[136:137], v[168:171]// 000000007FB8: D3F300A8 0EA31124
	buffer_load_dwordx4 a[100:103], v37, s[12:15], 0 offen     // 000000007FC0: E05C1000 80836425
	v_mfma_f32_16x16x32_fp8_fp8 v[168:171], a[38:39], v[138:139], v[168:171]// 000000007FC8: D3F300A8 0EA31526
	v_mfma_f32_16x16x32_fp8_fp8 v[172:175], a[36:37], v[152:153], v[172:175]// 000000007FD0: D3F300AC 0EB33124
	v_mfma_f32_16x16x32_fp8_fp8 v[172:175], a[38:39], v[154:155], v[172:175]// 000000007FD8: D3F300AC 0EB33526
	v_mfma_f32_16x16x32_fp8_fp8 v[176:179], a[40:41], v[136:137], v[176:179]// 000000007FE0: D3F300B0 0EC31128
	buffer_load_dwordx4 a[104:107], v38, s[12:15], 0 offen     // 000000007FE8: E05C1000 80836826
	v_mfma_f32_16x16x32_fp8_fp8 v[176:179], a[42:43], v[138:139], v[176:179]// 000000007FF0: D3F300B0 0EC3152A
	v_mfma_f32_16x16x32_fp8_fp8 v[180:183], a[40:41], v[152:153], v[180:183]// 000000007FF8: D3F300B4 0ED33128
	v_mfma_f32_16x16x32_fp8_fp8 v[180:183], a[42:43], v[154:155], v[180:183]// 000000008000: D3F300B4 0ED3352A
	v_mfma_f32_16x16x32_fp8_fp8 v[184:187], a[44:45], v[136:137], v[184:187]// 000000008008: D3F300B8 0EE3112C
	buffer_load_dwordx4 a[108:111], v39, s[12:15], 0 offen     // 000000008010: E05C1000 80836C27
	s_add_u32 s12, s78, s12                                    // 000000008018: 800C0C4E
	s_addc_u32 s13, 0, s13                                     // 00000000801C: 820D0D80
	v_mfma_f32_16x16x32_fp8_fp8 v[184:187], a[46:47], v[138:139], v[184:187]// 000000008020: D3F300B8 0EE3152E
	v_mfma_f32_16x16x32_fp8_fp8 v[188:191], a[44:45], v[152:153], v[188:191]// 000000008028: D3F300BC 0EF3312C
	v_mfma_f32_16x16x32_fp8_fp8 v[188:191], a[46:47], v[154:155], v[188:191]// 000000008030: D3F300BC 0EF3352E
	s_waitcnt vmcnt(28)                                        // 000000008038: BF8C4F7C
	v_mfma_f32_16x16x32_fp8_fp8 v[160:163], a[48:49], v[140:141], v[160:163]// 00000000803C: D3F300A0 0E831930
	buffer_load_dwordx4 a[112:115], v36, s[12:15], 0 offen     // 000000008044: E05C1000 80837024
	v_mfma_f32_16x16x32_fp8_fp8 v[160:163], a[50:51], v[142:143], v[160:163]// 00000000804C: D3F300A0 0E831D32
	v_mfma_f32_16x16x32_fp8_fp8 v[164:167], a[48:49], v[156:157], v[164:167]// 000000008054: D3F300A4 0E933930
	buffer_load_dword v12, v5, s[16:19], 0 offen               // 00000000805C: E0501000 80040C05
	v_mfma_f32_16x16x32_fp8_fp8 v[164:167], a[50:51], v[158:159], v[164:167]// 000000008064: D3F300A4 0E933D32
	v_mfma_f32_16x16x32_fp8_fp8 v[168:171], a[52:53], v[140:141], v[168:171]// 00000000806C: D3F300A8 0EA31934
	buffer_load_dwordx4 a[116:119], v37, s[12:15], 0 offen     // 000000008074: E05C1000 80837425
	v_mfma_f32_16x16x32_fp8_fp8 v[168:171], a[54:55], v[142:143], v[168:171]// 00000000807C: D3F300A8 0EA31D36
	v_mfma_f32_16x16x32_fp8_fp8 v[172:175], a[52:53], v[156:157], v[172:175]// 000000008084: D3F300AC 0EB33934
	v_mfma_f32_16x16x32_fp8_fp8 v[172:175], a[54:55], v[158:159], v[172:175]// 00000000808C: D3F300AC 0EB33D36
	v_mfma_f32_16x16x32_fp8_fp8 v[176:179], a[56:57], v[140:141], v[176:179]// 000000008094: D3F300B0 0EC31938
	buffer_load_dwordx4 a[120:123], v38, s[12:15], 0 offen     // 00000000809C: E05C1000 80837826
	v_mfma_f32_16x16x32_fp8_fp8 v[176:179], a[58:59], v[142:143], v[176:179]// 0000000080A4: D3F300B0 0EC31D3A
	v_mfma_f32_16x16x32_fp8_fp8 v[180:183], a[56:57], v[156:157], v[180:183]// 0000000080AC: D3F300B4 0ED33938
	v_mfma_f32_16x16x32_fp8_fp8 v[180:183], a[58:59], v[158:159], v[180:183]// 0000000080B4: D3F300B4 0ED33D3A
	v_mfma_f32_16x16x32_fp8_fp8 v[184:187], a[60:61], v[140:141], v[184:187]// 0000000080BC: D3F300B8 0EE3193C
	buffer_load_dwordx4 a[124:127], v39, s[12:15], 0 offen     // 0000000080C4: E05C1000 80837C27
	v_mfma_f32_16x16x32_fp8_fp8 v[184:187], a[62:63], v[142:143], v[184:187]// 0000000080CC: D3F300B8 0EE31D3E
	v_mfma_f32_16x16x32_fp8_fp8 v[188:191], a[60:61], v[156:157], v[188:191]// 0000000080D4: D3F300BC 0EF3393C
	v_mfma_f32_16x16x32_fp8_fp8 v[188:191], a[62:63], v[158:159], v[188:191]// 0000000080DC: D3F300BC 0EF33D3E
	s_add_u32 s60, 0x200, s80                                  // 0000000080E4: 803C50FF 00000200
	s_cmp_lt_u32 s60, s81                                      // 0000000080EC: BF0A513C
	s_cselect_b32 s56, s56, 0                                  // 0000000080F0: 85388038
	s_cselect_b32 s78, s78, 0                                  // 0000000080F4: 854E804E
	s_cselect_b32 s79, s79, 0                                  // 0000000080F8: 854F804F
	s_add_u32 s12, s56, s12                                    // 0000000080FC: 800C0C38
	s_addc_u32 s13, 0, s13                                     // 000000008100: 820D0D80
	s_add_u32 s16, s79, s16                                    // 000000008104: 8010104F
	s_addc_u32 s17, 0, s17                                     // 000000008108: 82111180
	v_mul_f32_e32 v160, v22, v160                              // 00000000810C: 0B414116
	v_mul_f32_e32 v161, v22, v161                              // 000000008110: 0B434316
	v_mul_f32_e32 v162, v22, v162                              // 000000008114: 0B454516
	v_mul_f32_e32 v163, v22, v163                              // 000000008118: 0B474716
	v_mul_f32_dpp v160, v11, v160 row_newbcast:0 row_mask:0xf bank_mask:0xf// 00000000811C: 0B4140FA FF01500B
	v_mul_f32_dpp v161, v11, v161 row_newbcast:1 row_mask:0xf bank_mask:0xf// 000000008124: 0B4342FA FF01510B
	v_mul_f32_dpp v162, v11, v162 row_newbcast:2 row_mask:0xf bank_mask:0xf// 00000000812C: 0B4544FA FF01520B
	v_mul_f32_dpp v163, v11, v163 row_newbcast:3 row_mask:0xf bank_mask:0xf// 000000008134: 0B4746FA FF01530B
	v_mul_f32_e32 v164, v23, v164                              // 00000000813C: 0B494917
	v_mul_f32_e32 v165, v23, v165                              // 000000008140: 0B4B4B17
	v_mul_f32_e32 v166, v23, v166                              // 000000008144: 0B4D4D17
	v_mul_f32_e32 v167, v23, v167                              // 000000008148: 0B4F4F17
	v_mul_f32_dpp v164, v11, v164 row_newbcast:0 row_mask:0xf bank_mask:0xf// 00000000814C: 0B4948FA FF01500B
	v_mul_f32_dpp v165, v11, v165 row_newbcast:1 row_mask:0xf bank_mask:0xf// 000000008154: 0B4B4AFA FF01510B
	v_mul_f32_dpp v166, v11, v166 row_newbcast:2 row_mask:0xf bank_mask:0xf// 00000000815C: 0B4D4CFA FF01520B
	v_mul_f32_dpp v167, v11, v167 row_newbcast:3 row_mask:0xf bank_mask:0xf// 000000008164: 0B4F4EFA FF01530B
	v_mul_f32_e32 v168, v22, v168                              // 00000000816C: 0B515116
	v_mul_f32_e32 v169, v22, v169                              // 000000008170: 0B535316
	v_mul_f32_e32 v170, v22, v170                              // 000000008174: 0B555516
	v_mul_f32_e32 v171, v22, v171                              // 000000008178: 0B575716
	v_mul_f32_dpp v168, v11, v168 row_newbcast:4 row_mask:0xf bank_mask:0xf// 00000000817C: 0B5150FA FF01540B
	v_mul_f32_dpp v169, v11, v169 row_newbcast:5 row_mask:0xf bank_mask:0xf// 000000008184: 0B5352FA FF01550B
	v_mul_f32_dpp v170, v11, v170 row_newbcast:6 row_mask:0xf bank_mask:0xf// 00000000818C: 0B5554FA FF01560B
	v_mul_f32_dpp v171, v11, v171 row_newbcast:7 row_mask:0xf bank_mask:0xf// 000000008194: 0B5756FA FF01570B
	v_mul_f32_e32 v172, v23, v172                              // 00000000819C: 0B595917
	v_mul_f32_e32 v173, v23, v173                              // 0000000081A0: 0B5B5B17
	v_mul_f32_e32 v174, v23, v174                              // 0000000081A4: 0B5D5D17
	v_mul_f32_e32 v175, v23, v175                              // 0000000081A8: 0B5F5F17
	v_mul_f32_dpp v172, v11, v172 row_newbcast:4 row_mask:0xf bank_mask:0xf// 0000000081AC: 0B5958FA FF01540B
	v_mul_f32_dpp v173, v11, v173 row_newbcast:5 row_mask:0xf bank_mask:0xf// 0000000081B4: 0B5B5AFA FF01550B
	v_mul_f32_dpp v174, v11, v174 row_newbcast:6 row_mask:0xf bank_mask:0xf// 0000000081BC: 0B5D5CFA FF01560B
	v_mul_f32_dpp v175, v11, v175 row_newbcast:7 row_mask:0xf bank_mask:0xf// 0000000081C4: 0B5F5EFA FF01570B
	v_mul_f32_e32 v176, v22, v176                              // 0000000081CC: 0B616116
	v_mul_f32_e32 v177, v22, v177                              // 0000000081D0: 0B636316
	v_mul_f32_e32 v178, v22, v178                              // 0000000081D4: 0B656516
	v_mul_f32_e32 v179, v22, v179                              // 0000000081D8: 0B676716
	v_mul_f32_dpp v176, v11, v176 row_newbcast:8 row_mask:0xf bank_mask:0xf// 0000000081DC: 0B6160FA FF01580B
	v_mul_f32_dpp v177, v11, v177 row_newbcast:9 row_mask:0xf bank_mask:0xf// 0000000081E4: 0B6362FA FF01590B
	v_mul_f32_dpp v178, v11, v178 row_newbcast:10 row_mask:0xf bank_mask:0xf// 0000000081EC: 0B6564FA FF015A0B
	v_mul_f32_dpp v179, v11, v179 row_newbcast:11 row_mask:0xf bank_mask:0xf// 0000000081F4: 0B6766FA FF015B0B
	v_mul_f32_e32 v180, v23, v180                              // 0000000081FC: 0B696917
	v_mul_f32_e32 v181, v23, v181                              // 000000008200: 0B6B6B17
	v_mul_f32_e32 v182, v23, v182                              // 000000008204: 0B6D6D17
	v_mul_f32_e32 v183, v23, v183                              // 000000008208: 0B6F6F17
	v_mul_f32_dpp v180, v11, v180 row_newbcast:8 row_mask:0xf bank_mask:0xf// 00000000820C: 0B6968FA FF01580B
	v_mul_f32_dpp v181, v11, v181 row_newbcast:9 row_mask:0xf bank_mask:0xf// 000000008214: 0B6B6AFA FF01590B
	v_mul_f32_dpp v182, v11, v182 row_newbcast:10 row_mask:0xf bank_mask:0xf// 00000000821C: 0B6D6CFA FF015A0B
	v_mul_f32_dpp v183, v11, v183 row_newbcast:11 row_mask:0xf bank_mask:0xf// 000000008224: 0B6F6EFA FF015B0B
	v_mul_f32_e32 v184, v22, v184                              // 00000000822C: 0B717116
	v_mul_f32_e32 v185, v22, v185                              // 000000008230: 0B737316
	v_mul_f32_e32 v186, v22, v186                              // 000000008234: 0B757516
	v_mul_f32_e32 v187, v22, v187                              // 000000008238: 0B777716
	v_mul_f32_dpp v184, v11, v184 row_newbcast:12 row_mask:0xf bank_mask:0xf// 00000000823C: 0B7170FA FF015C0B
	v_mul_f32_dpp v185, v11, v185 row_newbcast:13 row_mask:0xf bank_mask:0xf// 000000008244: 0B7372FA FF015D0B
	v_mul_f32_dpp v186, v11, v186 row_newbcast:14 row_mask:0xf bank_mask:0xf// 00000000824C: 0B7574FA FF015E0B
	v_mul_f32_dpp v187, v11, v187 row_newbcast:15 row_mask:0xf bank_mask:0xf// 000000008254: 0B7776FA FF015F0B
	v_mul_f32_e32 v188, v23, v188                              // 00000000825C: 0B797917
	v_mul_f32_e32 v189, v23, v189                              // 000000008260: 0B7B7B17
	v_mul_f32_e32 v190, v23, v190                              // 000000008264: 0B7D7D17
	v_mul_f32_e32 v191, v23, v191                              // 000000008268: 0B7F7F17
	v_mul_f32_dpp v188, v11, v188 row_newbcast:12 row_mask:0xf bank_mask:0xf// 00000000826C: 0B7978FA FF015C0B
	v_mul_f32_dpp v189, v11, v189 row_newbcast:13 row_mask:0xf bank_mask:0xf// 000000008274: 0B7B7AFA FF015D0B
	v_mul_f32_dpp v190, v11, v190 row_newbcast:14 row_mask:0xf bank_mask:0xf// 00000000827C: 0B7D7CFA FF015E0B
	v_mul_f32_dpp v191, v11, v191 row_newbcast:15 row_mask:0xf bank_mask:0xf// 000000008284: 0B7F7EFA FF015F0B
	v_cmp_u_f32_e64 s[48:49], v160, v160                       // 00000000828C: D0480030 000341A0
	v_add3_u32 v40, v160, v43, 1                               // 000000008294: D1FF0028 020657A0
	v_cndmask_b32_e64 v46, v40, v42, s[48:49]                  // 00000000829C: D100002E 00C25528
	v_cmp_u_f32_e64 s[48:49], v161, v161                       // 0000000082A4: D0480030 000343A1
	v_add3_u32 v40, v161, v43, 1                               // 0000000082AC: D1FF0028 020657A1
	v_cndmask_b32_e64 v47, v40, v42, s[48:49]                  // 0000000082B4: D100002F 00C25528
	v_perm_b32 v160, v47, v46, s52                             // 0000000082BC: D1ED00A0 00D25D2F
	v_cmp_u_f32_e64 s[48:49], v162, v162                       // 0000000082C4: D0480030 000345A2
	v_add3_u32 v40, v162, v43, 1                               // 0000000082CC: D1FF0028 020657A2
	v_cndmask_b32_e64 v46, v40, v42, s[48:49]                  // 0000000082D4: D100002E 00C25528
	v_cmp_u_f32_e64 s[48:49], v163, v163                       // 0000000082DC: D0480030 000347A3
	v_add3_u32 v40, v163, v43, 1                               // 0000000082E4: D1FF0028 020657A3
	v_cndmask_b32_e64 v47, v40, v42, s[48:49]                  // 0000000082EC: D100002F 00C25528
	v_perm_b32 v161, v47, v46, s52                             // 0000000082F4: D1ED00A1 00D25D2F
	v_cmp_u_f32_e64 s[48:49], v164, v164                       // 0000000082FC: D0480030 000349A4
	v_add3_u32 v40, v164, v43, 1                               // 000000008304: D1FF0028 020657A4
	v_cndmask_b32_e64 v46, v40, v42, s[48:49]                  // 00000000830C: D100002E 00C25528
	v_cmp_u_f32_e64 s[48:49], v165, v165                       // 000000008314: D0480030 00034BA5
	v_add3_u32 v40, v165, v43, 1                               // 00000000831C: D1FF0028 020657A5
	v_cndmask_b32_e64 v47, v40, v42, s[48:49]                  // 000000008324: D100002F 00C25528
	v_perm_b32 v162, v47, v46, s52                             // 00000000832C: D1ED00A2 00D25D2F
	v_cmp_u_f32_e64 s[48:49], v166, v166                       // 000000008334: D0480030 00034DA6
	v_add3_u32 v40, v166, v43, 1                               // 00000000833C: D1FF0028 020657A6
	v_cndmask_b32_e64 v46, v40, v42, s[48:49]                  // 000000008344: D100002E 00C25528
	v_cmp_u_f32_e64 s[48:49], v167, v167                       // 00000000834C: D0480030 00034FA7
	v_add3_u32 v40, v167, v43, 1                               // 000000008354: D1FF0028 020657A7
	v_cndmask_b32_e64 v47, v40, v42, s[48:49]                  // 00000000835C: D100002F 00C25528
	v_perm_b32 v163, v47, v46, s52                             // 000000008364: D1ED00A3 00D25D2F
	v_cmp_u_f32_e64 s[48:49], v168, v168                       // 00000000836C: D0480030 000351A8
	v_add3_u32 v40, v168, v43, 1                               // 000000008374: D1FF0028 020657A8
	v_cndmask_b32_e64 v46, v40, v42, s[48:49]                  // 00000000837C: D100002E 00C25528
	v_cmp_u_f32_e64 s[48:49], v169, v169                       // 000000008384: D0480030 000353A9
	v_add3_u32 v40, v169, v43, 1                               // 00000000838C: D1FF0028 020657A9
	v_cndmask_b32_e64 v47, v40, v42, s[48:49]                  // 000000008394: D100002F 00C25528
	v_perm_b32 v164, v47, v46, s52                             // 00000000839C: D1ED00A4 00D25D2F
	v_cmp_u_f32_e64 s[48:49], v170, v170                       // 0000000083A4: D0480030 000355AA
	v_add3_u32 v40, v170, v43, 1                               // 0000000083AC: D1FF0028 020657AA
	v_cndmask_b32_e64 v46, v40, v42, s[48:49]                  // 0000000083B4: D100002E 00C25528
	v_cmp_u_f32_e64 s[48:49], v171, v171                       // 0000000083BC: D0480030 000357AB
	v_add3_u32 v40, v171, v43, 1                               // 0000000083C4: D1FF0028 020657AB
	v_cndmask_b32_e64 v47, v40, v42, s[48:49]                  // 0000000083CC: D100002F 00C25528
	v_perm_b32 v165, v47, v46, s52                             // 0000000083D4: D1ED00A5 00D25D2F
	v_cmp_u_f32_e64 s[48:49], v172, v172                       // 0000000083DC: D0480030 000359AC
	v_add3_u32 v40, v172, v43, 1                               // 0000000083E4: D1FF0028 020657AC
	v_cndmask_b32_e64 v46, v40, v42, s[48:49]                  // 0000000083EC: D100002E 00C25528
	v_cmp_u_f32_e64 s[48:49], v173, v173                       // 0000000083F4: D0480030 00035BAD
	v_add3_u32 v40, v173, v43, 1                               // 0000000083FC: D1FF0028 020657AD
	v_cndmask_b32_e64 v47, v40, v42, s[48:49]                  // 000000008404: D100002F 00C25528
	v_perm_b32 v166, v47, v46, s52                             // 00000000840C: D1ED00A6 00D25D2F
	v_cmp_u_f32_e64 s[48:49], v174, v174                       // 000000008414: D0480030 00035DAE
	v_add3_u32 v40, v174, v43, 1                               // 00000000841C: D1FF0028 020657AE
	v_cndmask_b32_e64 v46, v40, v42, s[48:49]                  // 000000008424: D100002E 00C25528
	v_cmp_u_f32_e64 s[48:49], v175, v175                       // 00000000842C: D0480030 00035FAF
	v_add3_u32 v40, v175, v43, 1                               // 000000008434: D1FF0028 020657AF
	v_cndmask_b32_e64 v47, v40, v42, s[48:49]                  // 00000000843C: D100002F 00C25528
	v_perm_b32 v167, v47, v46, s52                             // 000000008444: D1ED00A7 00D25D2F
	v_cmp_u_f32_e64 s[48:49], v176, v176                       // 00000000844C: D0480030 000361B0
	v_add3_u32 v40, v176, v43, 1                               // 000000008454: D1FF0028 020657B0
	v_cndmask_b32_e64 v46, v40, v42, s[48:49]                  // 00000000845C: D100002E 00C25528
	v_cmp_u_f32_e64 s[48:49], v177, v177                       // 000000008464: D0480030 000363B1
	v_add3_u32 v40, v177, v43, 1                               // 00000000846C: D1FF0028 020657B1
	v_cndmask_b32_e64 v47, v40, v42, s[48:49]                  // 000000008474: D100002F 00C25528
	v_perm_b32 v168, v47, v46, s52                             // 00000000847C: D1ED00A8 00D25D2F
	v_cmp_u_f32_e64 s[48:49], v178, v178                       // 000000008484: D0480030 000365B2
	v_add3_u32 v40, v178, v43, 1                               // 00000000848C: D1FF0028 020657B2
	v_cndmask_b32_e64 v46, v40, v42, s[48:49]                  // 000000008494: D100002E 00C25528
	v_cmp_u_f32_e64 s[48:49], v179, v179                       // 00000000849C: D0480030 000367B3
	v_add3_u32 v40, v179, v43, 1                               // 0000000084A4: D1FF0028 020657B3
	v_cndmask_b32_e64 v47, v40, v42, s[48:49]                  // 0000000084AC: D100002F 00C25528
	v_perm_b32 v169, v47, v46, s52                             // 0000000084B4: D1ED00A9 00D25D2F
	v_cmp_u_f32_e64 s[48:49], v180, v180                       // 0000000084BC: D0480030 000369B4
	v_add3_u32 v40, v180, v43, 1                               // 0000000084C4: D1FF0028 020657B4
	v_cndmask_b32_e64 v46, v40, v42, s[48:49]                  // 0000000084CC: D100002E 00C25528
	v_cmp_u_f32_e64 s[48:49], v181, v181                       // 0000000084D4: D0480030 00036BB5
	v_add3_u32 v40, v181, v43, 1                               // 0000000084DC: D1FF0028 020657B5
	v_cndmask_b32_e64 v47, v40, v42, s[48:49]                  // 0000000084E4: D100002F 00C25528
	v_perm_b32 v170, v47, v46, s52                             // 0000000084EC: D1ED00AA 00D25D2F
	v_cmp_u_f32_e64 s[48:49], v182, v182                       // 0000000084F4: D0480030 00036DB6
	v_add3_u32 v40, v182, v43, 1                               // 0000000084FC: D1FF0028 020657B6
	v_cndmask_b32_e64 v46, v40, v42, s[48:49]                  // 000000008504: D100002E 00C25528
	v_cmp_u_f32_e64 s[48:49], v183, v183                       // 00000000850C: D0480030 00036FB7
	v_add3_u32 v40, v183, v43, 1                               // 000000008514: D1FF0028 020657B7
	v_cndmask_b32_e64 v47, v40, v42, s[48:49]                  // 00000000851C: D100002F 00C25528
	v_perm_b32 v171, v47, v46, s52                             // 000000008524: D1ED00AB 00D25D2F
	v_cmp_u_f32_e64 s[48:49], v184, v184                       // 00000000852C: D0480030 000371B8
	v_add3_u32 v40, v184, v43, 1                               // 000000008534: D1FF0028 020657B8
	v_cndmask_b32_e64 v46, v40, v42, s[48:49]                  // 00000000853C: D100002E 00C25528
	v_cmp_u_f32_e64 s[48:49], v185, v185                       // 000000008544: D0480030 000373B9
	v_add3_u32 v40, v185, v43, 1                               // 00000000854C: D1FF0028 020657B9
	v_cndmask_b32_e64 v47, v40, v42, s[48:49]                  // 000000008554: D100002F 00C25528
	v_perm_b32 v172, v47, v46, s52                             // 00000000855C: D1ED00AC 00D25D2F
	v_cmp_u_f32_e64 s[48:49], v186, v186                       // 000000008564: D0480030 000375BA
	v_add3_u32 v40, v186, v43, 1                               // 00000000856C: D1FF0028 020657BA
	v_cndmask_b32_e64 v46, v40, v42, s[48:49]                  // 000000008574: D100002E 00C25528
	v_cmp_u_f32_e64 s[48:49], v187, v187                       // 00000000857C: D0480030 000377BB
	v_add3_u32 v40, v187, v43, 1                               // 000000008584: D1FF0028 020657BB
	v_cndmask_b32_e64 v47, v40, v42, s[48:49]                  // 00000000858C: D100002F 00C25528
	v_perm_b32 v173, v47, v46, s52                             // 000000008594: D1ED00AD 00D25D2F
	v_cmp_u_f32_e64 s[48:49], v188, v188                       // 00000000859C: D0480030 000379BC
	v_add3_u32 v40, v188, v43, 1                               // 0000000085A4: D1FF0028 020657BC
	v_cndmask_b32_e64 v46, v40, v42, s[48:49]                  // 0000000085AC: D100002E 00C25528
	v_cmp_u_f32_e64 s[48:49], v189, v189                       // 0000000085B4: D0480030 00037BBD
	v_add3_u32 v40, v189, v43, 1                               // 0000000085BC: D1FF0028 020657BD
	v_cndmask_b32_e64 v47, v40, v42, s[48:49]                  // 0000000085C4: D100002F 00C25528
	v_perm_b32 v174, v47, v46, s52                             // 0000000085CC: D1ED00AE 00D25D2F
	v_cmp_u_f32_e64 s[48:49], v190, v190                       // 0000000085D4: D0480030 00037DBE
	v_add3_u32 v40, v190, v43, 1                               // 0000000085DC: D1FF0028 020657BE
	v_cndmask_b32_e64 v46, v40, v42, s[48:49]                  // 0000000085E4: D100002E 00C25528
	v_cmp_u_f32_e64 s[48:49], v191, v191                       // 0000000085EC: D0480030 00037FBF
	v_add3_u32 v40, v191, v43, 1                               // 0000000085F4: D1FF0028 020657BF
	v_cndmask_b32_e64 v47, v40, v42, s[48:49]                  // 0000000085FC: D100002F 00C25528
	v_perm_b32 v175, v47, v46, s52                             // 000000008604: D1ED00AF 00D25D2F
	ds_write_b64 v3, v[160:161] offset:26880                   // 00000000860C: D89A6900 0000A003
	ds_write_b64 v3, v[162:163] offset:35584                   // 000000008614: D89A8B00 0000A203
	ds_write_b64 v3, v[164:165] offset:29056                   // 00000000861C: D89A7180 0000A403
	ds_write_b64 v3, v[166:167] offset:37760                   // 000000008624: D89A9380 0000A603
	ds_write_b64 v3, v[168:169] offset:31232                   // 00000000862C: D89A7A00 0000A803
	ds_write_b64 v3, v[170:171] offset:39936                   // 000000008634: D89A9C00 0000AA03
	ds_write_b64 v3, v[172:173] offset:33408                   // 00000000863C: D89A8280 0000AC03
	ds_write_b64 v3, v[174:175] offset:42112                   // 000000008644: D89AA480 0000AE03
	s_waitcnt lgkmcnt(0)                                       // 00000000864C: BF8CC07F
	s_barrier                                                  // 000000008650: BF8A0000
	ds_read_b32 v64, v4 offset:26880                           // 000000008654: D86C6900 40000004
	ds_read_b32 v65, v4 offset:31232                           // 00000000865C: D86C7A00 41000004
	ds_read_b32 v66, v4 offset:26912                           // 000000008664: D86C6920 42000004
	ds_read_b32 v67, v4 offset:31264                           // 00000000866C: D86C7A20 43000004
	ds_read_b32 v68, v4 offset:26944                           // 000000008674: D86C6940 44000004
	ds_read_b32 v69, v4 offset:31296                           // 00000000867C: D86C7A40 45000004
	ds_read_b32 v70, v4 offset:26976                           // 000000008684: D86C6960 46000004
	ds_read_b32 v71, v4 offset:31328                           // 00000000868C: D86C7A60 47000004
	ds_read_b32 v72, v4 offset:35584                           // 000000008694: D86C8B00 48000004
	ds_read_b32 v73, v4 offset:39936                           // 00000000869C: D86C9C00 49000004
	ds_read_b32 v74, v4 offset:35616                           // 0000000086A4: D86C8B20 4A000004
	ds_read_b32 v75, v4 offset:39968                           // 0000000086AC: D86C9C20 4B000004
	ds_read_b32 v76, v4 offset:35648                           // 0000000086B4: D86C8B40 4C000004
	ds_read_b32 v77, v4 offset:40000                           // 0000000086BC: D86C9C40 4D000004
	ds_read_b32 v78, v4 offset:35680                           // 0000000086C4: D86C8B60 4E000004
	ds_read_b32 v79, v4 offset:40032                           // 0000000086CC: D86C9C60 4F000004
	s_waitcnt lgkmcnt(0)                                       // 0000000086D4: BF8CC07F
	s_mov_b64 exec, s[20:21]                                   // 0000000086D8: BEFE0114
	global_atomic_pk_add_bf16 v80, v64, s[8:9]                 // 0000000086DC: DD488000 00084050
	s_mov_b64 exec, s[36:37]                                   // 0000000086E4: BEFE0124
	s_mov_b64 exec, s[20:21]                                   // 0000000086E8: BEFE0114
	global_atomic_pk_add_bf16 v80, v65, s[8:9] offset:256      // 0000000086EC: DD488100 00084150
	s_mov_b64 exec, s[36:37]                                   // 0000000086F4: BEFE0124
	s_mov_b64 exec, s[22:23]                                   // 0000000086F8: BEFE0116
	global_atomic_pk_add_bf16 v82, v66, s[8:9]                 // 0000000086FC: DD488000 00084252
	s_mov_b64 exec, s[36:37]                                   // 000000008704: BEFE0124
	s_mov_b64 exec, s[22:23]                                   // 000000008708: BEFE0116
	global_atomic_pk_add_bf16 v82, v67, s[8:9] offset:256      // 00000000870C: DD488100 00084352
	s_mov_b64 exec, s[36:37]                                   // 000000008714: BEFE0124
	s_mov_b64 exec, s[24:25]                                   // 000000008718: BEFE0118
	global_atomic_pk_add_bf16 v84, v68, s[8:9]                 // 00000000871C: DD488000 00084454
	s_mov_b64 exec, s[36:37]                                   // 000000008724: BEFE0124
	s_mov_b64 exec, s[24:25]                                   // 000000008728: BEFE0118
	global_atomic_pk_add_bf16 v84, v69, s[8:9] offset:256      // 00000000872C: DD488100 00084554
	s_mov_b64 exec, s[36:37]                                   // 000000008734: BEFE0124
	s_mov_b64 exec, s[26:27]                                   // 000000008738: BEFE011A
	global_atomic_pk_add_bf16 v86, v70, s[8:9]                 // 00000000873C: DD488000 00084656
	s_mov_b64 exec, s[36:37]                                   // 000000008744: BEFE0124
	s_mov_b64 exec, s[26:27]                                   // 000000008748: BEFE011A
	global_atomic_pk_add_bf16 v86, v71, s[8:9] offset:256      // 00000000874C: DD488100 00084756
	s_mov_b64 exec, s[36:37]                                   // 000000008754: BEFE0124
	s_mov_b64 exec, s[28:29]                                   // 000000008758: BEFE011C
	global_atomic_pk_add_bf16 v88, v72, s[8:9]                 // 00000000875C: DD488000 00084858
	s_mov_b64 exec, s[36:37]                                   // 000000008764: BEFE0124
	s_mov_b64 exec, s[28:29]                                   // 000000008768: BEFE011C
	global_atomic_pk_add_bf16 v88, v73, s[8:9] offset:256      // 00000000876C: DD488100 00084958
	s_mov_b64 exec, s[36:37]                                   // 000000008774: BEFE0124
	s_mov_b64 exec, s[30:31]                                   // 000000008778: BEFE011E
	global_atomic_pk_add_bf16 v90, v74, s[8:9]                 // 00000000877C: DD488000 00084A5A
	s_mov_b64 exec, s[36:37]                                   // 000000008784: BEFE0124
	s_mov_b64 exec, s[30:31]                                   // 000000008788: BEFE011E
	global_atomic_pk_add_bf16 v90, v75, s[8:9] offset:256      // 00000000878C: DD488100 00084B5A
	s_mov_b64 exec, s[36:37]                                   // 000000008794: BEFE0124
	s_mov_b64 exec, s[32:33]                                   // 000000008798: BEFE0120
	global_atomic_pk_add_bf16 v92, v76, s[8:9]                 // 00000000879C: DD488000 00084C5C
	s_mov_b64 exec, s[36:37]                                   // 0000000087A4: BEFE0124
	s_mov_b64 exec, s[32:33]                                   // 0000000087A8: BEFE0120
	global_atomic_pk_add_bf16 v92, v77, s[8:9] offset:256      // 0000000087AC: DD488100 00084D5C
	s_mov_b64 exec, s[36:37]                                   // 0000000087B4: BEFE0124
	s_mov_b64 exec, s[34:35]                                   // 0000000087B8: BEFE0122
	global_atomic_pk_add_bf16 v94, v78, s[8:9]                 // 0000000087BC: DD488000 00084E5E
	s_mov_b64 exec, s[36:37]                                   // 0000000087C4: BEFE0124
	s_mov_b64 exec, s[34:35]                                   // 0000000087C8: BEFE0122
	global_atomic_pk_add_bf16 v94, v79, s[8:9] offset:256      // 0000000087CC: DD488100 00084F5E
	s_mov_b64 exec, s[36:37]                                   // 0000000087D4: BEFE0124
	s_add_u32 s8, s59, s8                                      // 0000000087D8: 8008083B
	s_addc_u32 s9, 0, s9                                       // 0000000087DC: 82090980
	s_addk_i32 s80, 0x100                                      // 0000000087E0: B7500100
	s_cmp_lt_i32 s80, s81                                      // 0000000087E4: BF045150
	s_cbranch_scc0 label_0D96                                  // 0000000087E8: BF84F71B
	s_waitcnt vmcnt(29)                                        // 0000000087EC: BF8C4F7D
	s_barrier                                                  // 0000000087F0: BF8A0000
	v_mfma_f32_16x16x32_fp8_fp8 v[192:195], a[64:65], v[128:129], 0// 0000000087F4: D3F300C0 0A030140
	buffer_load_dwordx4 a[0:3], v36, s[12:15], 0 offen         // 0000000087FC: E05C1000 80830024
	v_mfma_f32_16x16x32_fp8_fp8 v[192:195], a[66:67], v[130:131], v[192:195]// 000000008804: D3F300C0 0F030542
	v_mfma_f32_16x16x32_fp8_fp8 v[196:199], a[64:65], v[144:145], 0// 00000000880C: D3F300C4 0A032140
	v_mfma_f32_16x16x32_fp8_fp8 v[196:199], a[66:67], v[146:147], v[196:199]// 000000008814: D3F300C4 0F132542
	v_mfma_f32_16x16x32_fp8_fp8 v[200:203], a[68:69], v[128:129], 0// 00000000881C: D3F300C8 0A030144
	buffer_load_dwordx4 a[4:7], v37, s[12:15], 0 offen         // 000000008824: E05C1000 80830425
	v_mfma_f32_16x16x32_fp8_fp8 v[200:203], a[70:71], v[130:131], v[200:203]// 00000000882C: D3F300C8 0F230546
	v_mfma_f32_16x16x32_fp8_fp8 v[204:207], a[68:69], v[144:145], 0// 000000008834: D3F300CC 0A032144
	v_mfma_f32_16x16x32_fp8_fp8 v[204:207], a[70:71], v[146:147], v[204:207]// 00000000883C: D3F300CC 0F332546
	v_mfma_f32_16x16x32_fp8_fp8 v[208:211], a[72:73], v[128:129], 0// 000000008844: D3F300D0 0A030148
	buffer_load_dwordx4 a[8:11], v38, s[12:15], 0 offen        // 00000000884C: E05C1000 80830826
	v_mfma_f32_16x16x32_fp8_fp8 v[208:211], a[74:75], v[130:131], v[208:211]// 000000008854: D3F300D0 0F43054A
	v_mfma_f32_16x16x32_fp8_fp8 v[212:215], a[72:73], v[144:145], 0// 00000000885C: D3F300D4 0A032148
	v_mfma_f32_16x16x32_fp8_fp8 v[212:215], a[74:75], v[146:147], v[212:215]// 000000008864: D3F300D4 0F53254A
	v_mfma_f32_16x16x32_fp8_fp8 v[216:219], a[76:77], v[128:129], 0// 00000000886C: D3F300D8 0A03014C
	buffer_load_dwordx4 a[12:15], v39, s[12:15], 0 offen       // 000000008874: E05C1000 80830C27
	s_add_u32 s12, s78, s12                                    // 00000000887C: 800C0C4E
	s_addc_u32 s13, 0, s13                                     // 000000008880: 820D0D80
	v_mfma_f32_16x16x32_fp8_fp8 v[216:219], a[78:79], v[130:131], v[216:219]// 000000008884: D3F300D8 0F63054E
	v_mfma_f32_16x16x32_fp8_fp8 v[220:223], a[76:77], v[144:145], 0// 00000000888C: D3F300DC 0A03214C
	v_mfma_f32_16x16x32_fp8_fp8 v[220:223], a[78:79], v[146:147], v[220:223]// 000000008894: D3F300DC 0F73254E
	s_waitcnt vmcnt(29)                                        // 00000000889C: BF8C4F7D
	v_mfma_f32_16x16x32_fp8_fp8 v[192:195], a[80:81], v[132:133], v[192:195]// 0000000088A0: D3F300C0 0F030950
	buffer_load_dwordx4 a[16:19], v36, s[12:15], 0 offen       // 0000000088A8: E05C1000 80831024
	v_mfma_f32_16x16x32_fp8_fp8 v[192:195], a[82:83], v[134:135], v[192:195]// 0000000088B0: D3F300C0 0F030D52
	v_mfma_f32_16x16x32_fp8_fp8 v[196:199], a[80:81], v[148:149], v[196:199]// 0000000088B8: D3F300C4 0F132950
	v_mfma_f32_16x16x32_fp8_fp8 v[196:199], a[82:83], v[150:151], v[196:199]// 0000000088C0: D3F300C4 0F132D52
	v_mfma_f32_16x16x32_fp8_fp8 v[200:203], a[84:85], v[132:133], v[200:203]// 0000000088C8: D3F300C8 0F230954
	buffer_load_dwordx4 a[20:23], v37, s[12:15], 0 offen       // 0000000088D0: E05C1000 80831425
	v_mfma_f32_16x16x32_fp8_fp8 v[200:203], a[86:87], v[134:135], v[200:203]// 0000000088D8: D3F300C8 0F230D56
	v_mfma_f32_16x16x32_fp8_fp8 v[204:207], a[84:85], v[148:149], v[204:207]// 0000000088E0: D3F300CC 0F332954
	v_mfma_f32_16x16x32_fp8_fp8 v[204:207], a[86:87], v[150:151], v[204:207]// 0000000088E8: D3F300CC 0F332D56
	v_mfma_f32_16x16x32_fp8_fp8 v[208:211], a[88:89], v[132:133], v[208:211]// 0000000088F0: D3F300D0 0F430958
	buffer_load_dwordx4 a[24:27], v38, s[12:15], 0 offen       // 0000000088F8: E05C1000 80831826
	v_mfma_f32_16x16x32_fp8_fp8 v[208:211], a[90:91], v[134:135], v[208:211]// 000000008900: D3F300D0 0F430D5A
	v_mfma_f32_16x16x32_fp8_fp8 v[212:215], a[88:89], v[148:149], v[212:215]// 000000008908: D3F300D4 0F532958
	v_mfma_f32_16x16x32_fp8_fp8 v[212:215], a[90:91], v[150:151], v[212:215]// 000000008910: D3F300D4 0F532D5A
	v_mfma_f32_16x16x32_fp8_fp8 v[216:219], a[92:93], v[132:133], v[216:219]// 000000008918: D3F300D8 0F63095C
	buffer_load_dwordx4 a[28:31], v39, s[12:15], 0 offen       // 000000008920: E05C1000 80831C27
	s_add_u32 s12, s78, s12                                    // 000000008928: 800C0C4E
	s_addc_u32 s13, 0, s13                                     // 00000000892C: 820D0D80
	v_mfma_f32_16x16x32_fp8_fp8 v[216:219], a[94:95], v[134:135], v[216:219]// 000000008930: D3F300D8 0F630D5E
	v_mfma_f32_16x16x32_fp8_fp8 v[220:223], a[92:93], v[148:149], v[220:223]// 000000008938: D3F300DC 0F73295C
	v_mfma_f32_16x16x32_fp8_fp8 v[220:223], a[94:95], v[150:151], v[220:223]// 000000008940: D3F300DC 0F732D5E
	s_waitcnt vmcnt(29)                                        // 000000008948: BF8C4F7D
	v_mfma_f32_16x16x32_fp8_fp8 v[192:195], a[96:97], v[136:137], v[192:195]// 00000000894C: D3F300C0 0F031160
	buffer_load_dwordx4 a[32:35], v36, s[12:15], 0 offen       // 000000008954: E05C1000 80832024
	v_mfma_f32_16x16x32_fp8_fp8 v[192:195], a[98:99], v[138:139], v[192:195]// 00000000895C: D3F300C0 0F031562
	v_mfma_f32_16x16x32_fp8_fp8 v[196:199], a[96:97], v[152:153], v[196:199]// 000000008964: D3F300C4 0F133160
	v_mfma_f32_16x16x32_fp8_fp8 v[196:199], a[98:99], v[154:155], v[196:199]// 00000000896C: D3F300C4 0F133562
	v_mfma_f32_16x16x32_fp8_fp8 v[200:203], a[100:101], v[136:137], v[200:203]// 000000008974: D3F300C8 0F231164
	buffer_load_dwordx4 a[36:39], v37, s[12:15], 0 offen       // 00000000897C: E05C1000 80832425
	v_mfma_f32_16x16x32_fp8_fp8 v[200:203], a[102:103], v[138:139], v[200:203]// 000000008984: D3F300C8 0F231566
	v_mfma_f32_16x16x32_fp8_fp8 v[204:207], a[100:101], v[152:153], v[204:207]// 00000000898C: D3F300CC 0F333164
	v_mfma_f32_16x16x32_fp8_fp8 v[204:207], a[102:103], v[154:155], v[204:207]// 000000008994: D3F300CC 0F333566
	v_mfma_f32_16x16x32_fp8_fp8 v[208:211], a[104:105], v[136:137], v[208:211]// 00000000899C: D3F300D0 0F431168
	buffer_load_dwordx4 a[40:43], v38, s[12:15], 0 offen       // 0000000089A4: E05C1000 80832826
	v_mfma_f32_16x16x32_fp8_fp8 v[208:211], a[106:107], v[138:139], v[208:211]// 0000000089AC: D3F300D0 0F43156A
	v_mfma_f32_16x16x32_fp8_fp8 v[212:215], a[104:105], v[152:153], v[212:215]// 0000000089B4: D3F300D4 0F533168
	v_mfma_f32_16x16x32_fp8_fp8 v[212:215], a[106:107], v[154:155], v[212:215]// 0000000089BC: D3F300D4 0F53356A
	v_mfma_f32_16x16x32_fp8_fp8 v[216:219], a[108:109], v[136:137], v[216:219]// 0000000089C4: D3F300D8 0F63116C
	buffer_load_dwordx4 a[44:47], v39, s[12:15], 0 offen       // 0000000089CC: E05C1000 80832C27
	s_add_u32 s12, s78, s12                                    // 0000000089D4: 800C0C4E
	s_addc_u32 s13, 0, s13                                     // 0000000089D8: 820D0D80
	v_mfma_f32_16x16x32_fp8_fp8 v[216:219], a[110:111], v[138:139], v[216:219]// 0000000089DC: D3F300D8 0F63156E
	v_mfma_f32_16x16x32_fp8_fp8 v[220:223], a[108:109], v[152:153], v[220:223]// 0000000089E4: D3F300DC 0F73316C
	v_mfma_f32_16x16x32_fp8_fp8 v[220:223], a[110:111], v[154:155], v[220:223]// 0000000089EC: D3F300DC 0F73356E
	s_waitcnt vmcnt(28)                                        // 0000000089F4: BF8C4F7C
	v_mfma_f32_16x16x32_fp8_fp8 v[192:195], a[112:113], v[140:141], v[192:195]// 0000000089F8: D3F300C0 0F031970
	buffer_load_dwordx4 a[48:51], v36, s[12:15], 0 offen       // 000000008A00: E05C1000 80833024
	v_mfma_f32_16x16x32_fp8_fp8 v[192:195], a[114:115], v[142:143], v[192:195]// 000000008A08: D3F300C0 0F031D72
	v_mfma_f32_16x16x32_fp8_fp8 v[196:199], a[112:113], v[156:157], v[196:199]// 000000008A10: D3F300C4 0F133970
	buffer_load_dword v11, v5, s[16:19], 0 offen               // 000000008A18: E0501000 80040B05
	v_mfma_f32_16x16x32_fp8_fp8 v[196:199], a[114:115], v[158:159], v[196:199]// 000000008A20: D3F300C4 0F133D72
	v_mfma_f32_16x16x32_fp8_fp8 v[200:203], a[116:117], v[140:141], v[200:203]// 000000008A28: D3F300C8 0F231974
	buffer_load_dwordx4 a[52:55], v37, s[12:15], 0 offen       // 000000008A30: E05C1000 80833425
	v_mfma_f32_16x16x32_fp8_fp8 v[200:203], a[118:119], v[142:143], v[200:203]// 000000008A38: D3F300C8 0F231D76
	v_mfma_f32_16x16x32_fp8_fp8 v[204:207], a[116:117], v[156:157], v[204:207]// 000000008A40: D3F300CC 0F333974
	v_mfma_f32_16x16x32_fp8_fp8 v[204:207], a[118:119], v[158:159], v[204:207]// 000000008A48: D3F300CC 0F333D76
	v_mfma_f32_16x16x32_fp8_fp8 v[208:211], a[120:121], v[140:141], v[208:211]// 000000008A50: D3F300D0 0F431978
	buffer_load_dwordx4 a[56:59], v38, s[12:15], 0 offen       // 000000008A58: E05C1000 80833826
	v_mfma_f32_16x16x32_fp8_fp8 v[208:211], a[122:123], v[142:143], v[208:211]// 000000008A60: D3F300D0 0F431D7A
	v_mfma_f32_16x16x32_fp8_fp8 v[212:215], a[120:121], v[156:157], v[212:215]// 000000008A68: D3F300D4 0F533978
	v_mfma_f32_16x16x32_fp8_fp8 v[212:215], a[122:123], v[158:159], v[212:215]// 000000008A70: D3F300D4 0F533D7A
	v_mfma_f32_16x16x32_fp8_fp8 v[216:219], a[124:125], v[140:141], v[216:219]// 000000008A78: D3F300D8 0F63197C
	buffer_load_dwordx4 a[60:63], v39, s[12:15], 0 offen       // 000000008A80: E05C1000 80833C27
	v_mfma_f32_16x16x32_fp8_fp8 v[216:219], a[126:127], v[142:143], v[216:219]// 000000008A88: D3F300D8 0F631D7E
	v_mfma_f32_16x16x32_fp8_fp8 v[220:223], a[124:125], v[156:157], v[220:223]// 000000008A90: D3F300DC 0F73397C
	v_mfma_f32_16x16x32_fp8_fp8 v[220:223], a[126:127], v[158:159], v[220:223]// 000000008A98: D3F300DC 0F733D7E
	s_add_u32 s60, 0x200, s80                                  // 000000008AA0: 803C50FF 00000200
	s_cmp_lt_u32 s60, s81                                      // 000000008AA8: BF0A513C
	s_cselect_b32 s56, s56, 0                                  // 000000008AAC: 85388038
	s_cselect_b32 s78, s78, 0                                  // 000000008AB0: 854E804E
	s_cselect_b32 s79, s79, 0                                  // 000000008AB4: 854F804F
	s_add_u32 s12, s56, s12                                    // 000000008AB8: 800C0C38
	s_addc_u32 s13, 0, s13                                     // 000000008ABC: 820D0D80
	s_add_u32 s16, s79, s16                                    // 000000008AC0: 8010104F
	s_addc_u32 s17, 0, s17                                     // 000000008AC4: 82111180
	v_mul_f32_e32 v192, v22, v192                              // 000000008AC8: 0B818116
	v_mul_f32_e32 v193, v22, v193                              // 000000008ACC: 0B838316
	v_mul_f32_e32 v194, v22, v194                              // 000000008AD0: 0B858516
	v_mul_f32_e32 v195, v22, v195                              // 000000008AD4: 0B878716
	v_mul_f32_dpp v192, v12, v192 row_newbcast:0 row_mask:0xf bank_mask:0xf// 000000008AD8: 0B8180FA FF01500C
	v_mul_f32_dpp v193, v12, v193 row_newbcast:1 row_mask:0xf bank_mask:0xf// 000000008AE0: 0B8382FA FF01510C
	v_mul_f32_dpp v194, v12, v194 row_newbcast:2 row_mask:0xf bank_mask:0xf// 000000008AE8: 0B8584FA FF01520C
	v_mul_f32_dpp v195, v12, v195 row_newbcast:3 row_mask:0xf bank_mask:0xf// 000000008AF0: 0B8786FA FF01530C
	v_mul_f32_e32 v196, v23, v196                              // 000000008AF8: 0B898917
	v_mul_f32_e32 v197, v23, v197                              // 000000008AFC: 0B8B8B17
	v_mul_f32_e32 v198, v23, v198                              // 000000008B00: 0B8D8D17
	v_mul_f32_e32 v199, v23, v199                              // 000000008B04: 0B8F8F17
	v_mul_f32_dpp v196, v12, v196 row_newbcast:0 row_mask:0xf bank_mask:0xf// 000000008B08: 0B8988FA FF01500C
	v_mul_f32_dpp v197, v12, v197 row_newbcast:1 row_mask:0xf bank_mask:0xf// 000000008B10: 0B8B8AFA FF01510C
	v_mul_f32_dpp v198, v12, v198 row_newbcast:2 row_mask:0xf bank_mask:0xf// 000000008B18: 0B8D8CFA FF01520C
	v_mul_f32_dpp v199, v12, v199 row_newbcast:3 row_mask:0xf bank_mask:0xf// 000000008B20: 0B8F8EFA FF01530C
	v_mul_f32_e32 v200, v22, v200                              // 000000008B28: 0B919116
	v_mul_f32_e32 v201, v22, v201                              // 000000008B2C: 0B939316
	v_mul_f32_e32 v202, v22, v202                              // 000000008B30: 0B959516
	v_mul_f32_e32 v203, v22, v203                              // 000000008B34: 0B979716
	v_mul_f32_dpp v200, v12, v200 row_newbcast:4 row_mask:0xf bank_mask:0xf// 000000008B38: 0B9190FA FF01540C
	v_mul_f32_dpp v201, v12, v201 row_newbcast:5 row_mask:0xf bank_mask:0xf// 000000008B40: 0B9392FA FF01550C
	v_mul_f32_dpp v202, v12, v202 row_newbcast:6 row_mask:0xf bank_mask:0xf// 000000008B48: 0B9594FA FF01560C
	v_mul_f32_dpp v203, v12, v203 row_newbcast:7 row_mask:0xf bank_mask:0xf// 000000008B50: 0B9796FA FF01570C
	v_mul_f32_e32 v204, v23, v204                              // 000000008B58: 0B999917
	v_mul_f32_e32 v205, v23, v205                              // 000000008B5C: 0B9B9B17
	v_mul_f32_e32 v206, v23, v206                              // 000000008B60: 0B9D9D17
	v_mul_f32_e32 v207, v23, v207                              // 000000008B64: 0B9F9F17
	v_mul_f32_dpp v204, v12, v204 row_newbcast:4 row_mask:0xf bank_mask:0xf// 000000008B68: 0B9998FA FF01540C
	v_mul_f32_dpp v205, v12, v205 row_newbcast:5 row_mask:0xf bank_mask:0xf// 000000008B70: 0B9B9AFA FF01550C
	v_mul_f32_dpp v206, v12, v206 row_newbcast:6 row_mask:0xf bank_mask:0xf// 000000008B78: 0B9D9CFA FF01560C
	v_mul_f32_dpp v207, v12, v207 row_newbcast:7 row_mask:0xf bank_mask:0xf// 000000008B80: 0B9F9EFA FF01570C
	v_mul_f32_e32 v208, v22, v208                              // 000000008B88: 0BA1A116
	v_mul_f32_e32 v209, v22, v209                              // 000000008B8C: 0BA3A316
	v_mul_f32_e32 v210, v22, v210                              // 000000008B90: 0BA5A516
	v_mul_f32_e32 v211, v22, v211                              // 000000008B94: 0BA7A716
	v_mul_f32_dpp v208, v12, v208 row_newbcast:8 row_mask:0xf bank_mask:0xf// 000000008B98: 0BA1A0FA FF01580C
	v_mul_f32_dpp v209, v12, v209 row_newbcast:9 row_mask:0xf bank_mask:0xf// 000000008BA0: 0BA3A2FA FF01590C
	v_mul_f32_dpp v210, v12, v210 row_newbcast:10 row_mask:0xf bank_mask:0xf// 000000008BA8: 0BA5A4FA FF015A0C
	v_mul_f32_dpp v211, v12, v211 row_newbcast:11 row_mask:0xf bank_mask:0xf// 000000008BB0: 0BA7A6FA FF015B0C
	v_mul_f32_e32 v212, v23, v212                              // 000000008BB8: 0BA9A917
	v_mul_f32_e32 v213, v23, v213                              // 000000008BBC: 0BABAB17
	v_mul_f32_e32 v214, v23, v214                              // 000000008BC0: 0BADAD17
	v_mul_f32_e32 v215, v23, v215                              // 000000008BC4: 0BAFAF17
	v_mul_f32_dpp v212, v12, v212 row_newbcast:8 row_mask:0xf bank_mask:0xf// 000000008BC8: 0BA9A8FA FF01580C
	v_mul_f32_dpp v213, v12, v213 row_newbcast:9 row_mask:0xf bank_mask:0xf// 000000008BD0: 0BABAAFA FF01590C
	v_mul_f32_dpp v214, v12, v214 row_newbcast:10 row_mask:0xf bank_mask:0xf// 000000008BD8: 0BADACFA FF015A0C
	v_mul_f32_dpp v215, v12, v215 row_newbcast:11 row_mask:0xf bank_mask:0xf// 000000008BE0: 0BAFAEFA FF015B0C
	v_mul_f32_e32 v216, v22, v216                              // 000000008BE8: 0BB1B116
	v_mul_f32_e32 v217, v22, v217                              // 000000008BEC: 0BB3B316
	v_mul_f32_e32 v218, v22, v218                              // 000000008BF0: 0BB5B516
	v_mul_f32_e32 v219, v22, v219                              // 000000008BF4: 0BB7B716
	v_mul_f32_dpp v216, v12, v216 row_newbcast:12 row_mask:0xf bank_mask:0xf// 000000008BF8: 0BB1B0FA FF015C0C
	v_mul_f32_dpp v217, v12, v217 row_newbcast:13 row_mask:0xf bank_mask:0xf// 000000008C00: 0BB3B2FA FF015D0C
	v_mul_f32_dpp v218, v12, v218 row_newbcast:14 row_mask:0xf bank_mask:0xf// 000000008C08: 0BB5B4FA FF015E0C
	v_mul_f32_dpp v219, v12, v219 row_newbcast:15 row_mask:0xf bank_mask:0xf// 000000008C10: 0BB7B6FA FF015F0C
	v_mul_f32_e32 v220, v23, v220                              // 000000008C18: 0BB9B917
	v_mul_f32_e32 v221, v23, v221                              // 000000008C1C: 0BBBBB17
	v_mul_f32_e32 v222, v23, v222                              // 000000008C20: 0BBDBD17
	v_mul_f32_e32 v223, v23, v223                              // 000000008C24: 0BBFBF17
	v_mul_f32_dpp v220, v12, v220 row_newbcast:12 row_mask:0xf bank_mask:0xf// 000000008C28: 0BB9B8FA FF015C0C
	v_mul_f32_dpp v221, v12, v221 row_newbcast:13 row_mask:0xf bank_mask:0xf// 000000008C30: 0BBBBAFA FF015D0C
	v_mul_f32_dpp v222, v12, v222 row_newbcast:14 row_mask:0xf bank_mask:0xf// 000000008C38: 0BBDBCFA FF015E0C
	v_mul_f32_dpp v223, v12, v223 row_newbcast:15 row_mask:0xf bank_mask:0xf// 000000008C40: 0BBFBEFA FF015F0C
	v_cmp_u_f32_e64 s[48:49], v192, v192                       // 000000008C48: D0480030 000381C0
	v_add3_u32 v40, v192, v43, 1                               // 000000008C50: D1FF0028 020657C0
	v_cndmask_b32_e64 v46, v40, v42, s[48:49]                  // 000000008C58: D100002E 00C25528
	v_cmp_u_f32_e64 s[48:49], v193, v193                       // 000000008C60: D0480030 000383C1
	v_add3_u32 v40, v193, v43, 1                               // 000000008C68: D1FF0028 020657C1
	v_cndmask_b32_e64 v47, v40, v42, s[48:49]                  // 000000008C70: D100002F 00C25528
	v_perm_b32 v192, v47, v46, s52                             // 000000008C78: D1ED00C0 00D25D2F
	v_cmp_u_f32_e64 s[48:49], v194, v194                       // 000000008C80: D0480030 000385C2
	v_add3_u32 v40, v194, v43, 1                               // 000000008C88: D1FF0028 020657C2
	v_cndmask_b32_e64 v46, v40, v42, s[48:49]                  // 000000008C90: D100002E 00C25528
	v_cmp_u_f32_e64 s[48:49], v195, v195                       // 000000008C98: D0480030 000387C3
	v_add3_u32 v40, v195, v43, 1                               // 000000008CA0: D1FF0028 020657C3
	v_cndmask_b32_e64 v47, v40, v42, s[48:49]                  // 000000008CA8: D100002F 00C25528
	v_perm_b32 v193, v47, v46, s52                             // 000000008CB0: D1ED00C1 00D25D2F
	v_cmp_u_f32_e64 s[48:49], v196, v196                       // 000000008CB8: D0480030 000389C4
	v_add3_u32 v40, v196, v43, 1                               // 000000008CC0: D1FF0028 020657C4
	v_cndmask_b32_e64 v46, v40, v42, s[48:49]                  // 000000008CC8: D100002E 00C25528
	v_cmp_u_f32_e64 s[48:49], v197, v197                       // 000000008CD0: D0480030 00038BC5
	v_add3_u32 v40, v197, v43, 1                               // 000000008CD8: D1FF0028 020657C5
	v_cndmask_b32_e64 v47, v40, v42, s[48:49]                  // 000000008CE0: D100002F 00C25528
	v_perm_b32 v194, v47, v46, s52                             // 000000008CE8: D1ED00C2 00D25D2F
	v_cmp_u_f32_e64 s[48:49], v198, v198                       // 000000008CF0: D0480030 00038DC6
	v_add3_u32 v40, v198, v43, 1                               // 000000008CF8: D1FF0028 020657C6
	v_cndmask_b32_e64 v46, v40, v42, s[48:49]                  // 000000008D00: D100002E 00C25528
	v_cmp_u_f32_e64 s[48:49], v199, v199                       // 000000008D08: D0480030 00038FC7
	v_add3_u32 v40, v199, v43, 1                               // 000000008D10: D1FF0028 020657C7
	v_cndmask_b32_e64 v47, v40, v42, s[48:49]                  // 000000008D18: D100002F 00C25528
	v_perm_b32 v195, v47, v46, s52                             // 000000008D20: D1ED00C3 00D25D2F
	v_cmp_u_f32_e64 s[48:49], v200, v200                       // 000000008D28: D0480030 000391C8
	v_add3_u32 v40, v200, v43, 1                               // 000000008D30: D1FF0028 020657C8
	v_cndmask_b32_e64 v46, v40, v42, s[48:49]                  // 000000008D38: D100002E 00C25528
	v_cmp_u_f32_e64 s[48:49], v201, v201                       // 000000008D40: D0480030 000393C9
	v_add3_u32 v40, v201, v43, 1                               // 000000008D48: D1FF0028 020657C9
	v_cndmask_b32_e64 v47, v40, v42, s[48:49]                  // 000000008D50: D100002F 00C25528
	v_perm_b32 v196, v47, v46, s52                             // 000000008D58: D1ED00C4 00D25D2F
	v_cmp_u_f32_e64 s[48:49], v202, v202                       // 000000008D60: D0480030 000395CA
	v_add3_u32 v40, v202, v43, 1                               // 000000008D68: D1FF0028 020657CA
	v_cndmask_b32_e64 v46, v40, v42, s[48:49]                  // 000000008D70: D100002E 00C25528
	v_cmp_u_f32_e64 s[48:49], v203, v203                       // 000000008D78: D0480030 000397CB
	v_add3_u32 v40, v203, v43, 1                               // 000000008D80: D1FF0028 020657CB
	v_cndmask_b32_e64 v47, v40, v42, s[48:49]                  // 000000008D88: D100002F 00C25528
	v_perm_b32 v197, v47, v46, s52                             // 000000008D90: D1ED00C5 00D25D2F
	v_cmp_u_f32_e64 s[48:49], v204, v204                       // 000000008D98: D0480030 000399CC
	v_add3_u32 v40, v204, v43, 1                               // 000000008DA0: D1FF0028 020657CC
	v_cndmask_b32_e64 v46, v40, v42, s[48:49]                  // 000000008DA8: D100002E 00C25528
	v_cmp_u_f32_e64 s[48:49], v205, v205                       // 000000008DB0: D0480030 00039BCD
	v_add3_u32 v40, v205, v43, 1                               // 000000008DB8: D1FF0028 020657CD
	v_cndmask_b32_e64 v47, v40, v42, s[48:49]                  // 000000008DC0: D100002F 00C25528
	v_perm_b32 v198, v47, v46, s52                             // 000000008DC8: D1ED00C6 00D25D2F
	v_cmp_u_f32_e64 s[48:49], v206, v206                       // 000000008DD0: D0480030 00039DCE
	v_add3_u32 v40, v206, v43, 1                               // 000000008DD8: D1FF0028 020657CE
	v_cndmask_b32_e64 v46, v40, v42, s[48:49]                  // 000000008DE0: D100002E 00C25528
	v_cmp_u_f32_e64 s[48:49], v207, v207                       // 000000008DE8: D0480030 00039FCF
	v_add3_u32 v40, v207, v43, 1                               // 000000008DF0: D1FF0028 020657CF
	v_cndmask_b32_e64 v47, v40, v42, s[48:49]                  // 000000008DF8: D100002F 00C25528
	v_perm_b32 v199, v47, v46, s52                             // 000000008E00: D1ED00C7 00D25D2F
	v_cmp_u_f32_e64 s[48:49], v208, v208                       // 000000008E08: D0480030 0003A1D0
	v_add3_u32 v40, v208, v43, 1                               // 000000008E10: D1FF0028 020657D0
	v_cndmask_b32_e64 v46, v40, v42, s[48:49]                  // 000000008E18: D100002E 00C25528
	v_cmp_u_f32_e64 s[48:49], v209, v209                       // 000000008E20: D0480030 0003A3D1
	v_add3_u32 v40, v209, v43, 1                               // 000000008E28: D1FF0028 020657D1
	v_cndmask_b32_e64 v47, v40, v42, s[48:49]                  // 000000008E30: D100002F 00C25528
	v_perm_b32 v200, v47, v46, s52                             // 000000008E38: D1ED00C8 00D25D2F
	v_cmp_u_f32_e64 s[48:49], v210, v210                       // 000000008E40: D0480030 0003A5D2
	v_add3_u32 v40, v210, v43, 1                               // 000000008E48: D1FF0028 020657D2
	v_cndmask_b32_e64 v46, v40, v42, s[48:49]                  // 000000008E50: D100002E 00C25528
	v_cmp_u_f32_e64 s[48:49], v211, v211                       // 000000008E58: D0480030 0003A7D3
	v_add3_u32 v40, v211, v43, 1                               // 000000008E60: D1FF0028 020657D3
	v_cndmask_b32_e64 v47, v40, v42, s[48:49]                  // 000000008E68: D100002F 00C25528
	v_perm_b32 v201, v47, v46, s52                             // 000000008E70: D1ED00C9 00D25D2F
	v_cmp_u_f32_e64 s[48:49], v212, v212                       // 000000008E78: D0480030 0003A9D4
	v_add3_u32 v40, v212, v43, 1                               // 000000008E80: D1FF0028 020657D4
	v_cndmask_b32_e64 v46, v40, v42, s[48:49]                  // 000000008E88: D100002E 00C25528
	v_cmp_u_f32_e64 s[48:49], v213, v213                       // 000000008E90: D0480030 0003ABD5
	v_add3_u32 v40, v213, v43, 1                               // 000000008E98: D1FF0028 020657D5
	v_cndmask_b32_e64 v47, v40, v42, s[48:49]                  // 000000008EA0: D100002F 00C25528
	v_perm_b32 v202, v47, v46, s52                             // 000000008EA8: D1ED00CA 00D25D2F
	v_cmp_u_f32_e64 s[48:49], v214, v214                       // 000000008EB0: D0480030 0003ADD6
	v_add3_u32 v40, v214, v43, 1                               // 000000008EB8: D1FF0028 020657D6
	v_cndmask_b32_e64 v46, v40, v42, s[48:49]                  // 000000008EC0: D100002E 00C25528
	v_cmp_u_f32_e64 s[48:49], v215, v215                       // 000000008EC8: D0480030 0003AFD7
	v_add3_u32 v40, v215, v43, 1                               // 000000008ED0: D1FF0028 020657D7
	v_cndmask_b32_e64 v47, v40, v42, s[48:49]                  // 000000008ED8: D100002F 00C25528
	v_perm_b32 v203, v47, v46, s52                             // 000000008EE0: D1ED00CB 00D25D2F
	v_cmp_u_f32_e64 s[48:49], v216, v216                       // 000000008EE8: D0480030 0003B1D8
	v_add3_u32 v40, v216, v43, 1                               // 000000008EF0: D1FF0028 020657D8
	v_cndmask_b32_e64 v46, v40, v42, s[48:49]                  // 000000008EF8: D100002E 00C25528
	v_cmp_u_f32_e64 s[48:49], v217, v217                       // 000000008F00: D0480030 0003B3D9
	v_add3_u32 v40, v217, v43, 1                               // 000000008F08: D1FF0028 020657D9
	v_cndmask_b32_e64 v47, v40, v42, s[48:49]                  // 000000008F10: D100002F 00C25528
	v_perm_b32 v204, v47, v46, s52                             // 000000008F18: D1ED00CC 00D25D2F
	v_cmp_u_f32_e64 s[48:49], v218, v218                       // 000000008F20: D0480030 0003B5DA
	v_add3_u32 v40, v218, v43, 1                               // 000000008F28: D1FF0028 020657DA
	v_cndmask_b32_e64 v46, v40, v42, s[48:49]                  // 000000008F30: D100002E 00C25528
	v_cmp_u_f32_e64 s[48:49], v219, v219                       // 000000008F38: D0480030 0003B7DB
	v_add3_u32 v40, v219, v43, 1                               // 000000008F40: D1FF0028 020657DB
	v_cndmask_b32_e64 v47, v40, v42, s[48:49]                  // 000000008F48: D100002F 00C25528
	v_perm_b32 v205, v47, v46, s52                             // 000000008F50: D1ED00CD 00D25D2F
	v_cmp_u_f32_e64 s[48:49], v220, v220                       // 000000008F58: D0480030 0003B9DC
	v_add3_u32 v40, v220, v43, 1                               // 000000008F60: D1FF0028 020657DC
	v_cndmask_b32_e64 v46, v40, v42, s[48:49]                  // 000000008F68: D100002E 00C25528
	v_cmp_u_f32_e64 s[48:49], v221, v221                       // 000000008F70: D0480030 0003BBDD
	v_add3_u32 v40, v221, v43, 1                               // 000000008F78: D1FF0028 020657DD
	v_cndmask_b32_e64 v47, v40, v42, s[48:49]                  // 000000008F80: D100002F 00C25528
	v_perm_b32 v206, v47, v46, s52                             // 000000008F88: D1ED00CE 00D25D2F
	v_cmp_u_f32_e64 s[48:49], v222, v222                       // 000000008F90: D0480030 0003BDDE
	v_add3_u32 v40, v222, v43, 1                               // 000000008F98: D1FF0028 020657DE
	v_cndmask_b32_e64 v46, v40, v42, s[48:49]                  // 000000008FA0: D100002E 00C25528
	v_cmp_u_f32_e64 s[48:49], v223, v223                       // 000000008FA8: D0480030 0003BFDF
	v_add3_u32 v40, v223, v43, 1                               // 000000008FB0: D1FF0028 020657DF
	v_cndmask_b32_e64 v47, v40, v42, s[48:49]                  // 000000008FB8: D100002F 00C25528
	v_perm_b32 v207, v47, v46, s52                             // 000000008FC0: D1ED00CF 00D25D2F
	ds_write_b64 v3, v[192:193] offset:26880                   // 000000008FC8: D89A6900 0000C003
	ds_write_b64 v3, v[194:195] offset:35584                   // 000000008FD0: D89A8B00 0000C203
	ds_write_b64 v3, v[196:197] offset:29056                   // 000000008FD8: D89A7180 0000C403
	ds_write_b64 v3, v[198:199] offset:37760                   // 000000008FE0: D89A9380 0000C603
	ds_write_b64 v3, v[200:201] offset:31232                   // 000000008FE8: D89A7A00 0000C803
	ds_write_b64 v3, v[202:203] offset:39936                   // 000000008FF0: D89A9C00 0000CA03
	ds_write_b64 v3, v[204:205] offset:33408                   // 000000008FF8: D89A8280 0000CC03
	ds_write_b64 v3, v[206:207] offset:42112                   // 000000009000: D89AA480 0000CE03
	s_waitcnt lgkmcnt(0)                                       // 000000009008: BF8CC07F
	s_barrier                                                  // 00000000900C: BF8A0000
	ds_read_b32 v64, v4 offset:26880                           // 000000009010: D86C6900 40000004
	ds_read_b32 v65, v4 offset:31232                           // 000000009018: D86C7A00 41000004
	ds_read_b32 v66, v4 offset:26912                           // 000000009020: D86C6920 42000004
	ds_read_b32 v67, v4 offset:31264                           // 000000009028: D86C7A20 43000004
	ds_read_b32 v68, v4 offset:26944                           // 000000009030: D86C6940 44000004
	ds_read_b32 v69, v4 offset:31296                           // 000000009038: D86C7A40 45000004
	ds_read_b32 v70, v4 offset:26976                           // 000000009040: D86C6960 46000004
	ds_read_b32 v71, v4 offset:31328                           // 000000009048: D86C7A60 47000004
	ds_read_b32 v72, v4 offset:35584                           // 000000009050: D86C8B00 48000004
	ds_read_b32 v73, v4 offset:39936                           // 000000009058: D86C9C00 49000004
	ds_read_b32 v74, v4 offset:35616                           // 000000009060: D86C8B20 4A000004
	ds_read_b32 v75, v4 offset:39968                           // 000000009068: D86C9C20 4B000004
	ds_read_b32 v76, v4 offset:35648                           // 000000009070: D86C8B40 4C000004
	ds_read_b32 v77, v4 offset:40000                           // 000000009078: D86C9C40 4D000004
	ds_read_b32 v78, v4 offset:35680                           // 000000009080: D86C8B60 4E000004
	ds_read_b32 v79, v4 offset:40032                           // 000000009088: D86C9C60 4F000004
	s_waitcnt lgkmcnt(0)                                       // 000000009090: BF8CC07F
	s_mov_b64 exec, s[20:21]                                   // 000000009094: BEFE0114
	global_atomic_pk_add_bf16 v80, v64, s[8:9]                 // 000000009098: DD488000 00084050
	s_mov_b64 exec, s[36:37]                                   // 0000000090A0: BEFE0124
	s_mov_b64 exec, s[20:21]                                   // 0000000090A4: BEFE0114
	global_atomic_pk_add_bf16 v80, v65, s[8:9] offset:256      // 0000000090A8: DD488100 00084150
	s_mov_b64 exec, s[36:37]                                   // 0000000090B0: BEFE0124
	s_mov_b64 exec, s[22:23]                                   // 0000000090B4: BEFE0116
	global_atomic_pk_add_bf16 v82, v66, s[8:9]                 // 0000000090B8: DD488000 00084252
	s_mov_b64 exec, s[36:37]                                   // 0000000090C0: BEFE0124
	s_mov_b64 exec, s[22:23]                                   // 0000000090C4: BEFE0116
	global_atomic_pk_add_bf16 v82, v67, s[8:9] offset:256      // 0000000090C8: DD488100 00084352
	s_mov_b64 exec, s[36:37]                                   // 0000000090D0: BEFE0124
	s_mov_b64 exec, s[24:25]                                   // 0000000090D4: BEFE0118
	global_atomic_pk_add_bf16 v84, v68, s[8:9]                 // 0000000090D8: DD488000 00084454
	s_mov_b64 exec, s[36:37]                                   // 0000000090E0: BEFE0124
	s_mov_b64 exec, s[24:25]                                   // 0000000090E4: BEFE0118
	global_atomic_pk_add_bf16 v84, v69, s[8:9] offset:256      // 0000000090E8: DD488100 00084554
	s_mov_b64 exec, s[36:37]                                   // 0000000090F0: BEFE0124
	s_mov_b64 exec, s[26:27]                                   // 0000000090F4: BEFE011A
	global_atomic_pk_add_bf16 v86, v70, s[8:9]                 // 0000000090F8: DD488000 00084656
	s_mov_b64 exec, s[36:37]                                   // 000000009100: BEFE0124
	s_mov_b64 exec, s[26:27]                                   // 000000009104: BEFE011A
	global_atomic_pk_add_bf16 v86, v71, s[8:9] offset:256      // 000000009108: DD488100 00084756
	s_mov_b64 exec, s[36:37]                                   // 000000009110: BEFE0124
	s_mov_b64 exec, s[28:29]                                   // 000000009114: BEFE011C
	global_atomic_pk_add_bf16 v88, v72, s[8:9]                 // 000000009118: DD488000 00084858
	s_mov_b64 exec, s[36:37]                                   // 000000009120: BEFE0124
	s_mov_b64 exec, s[28:29]                                   // 000000009124: BEFE011C
	global_atomic_pk_add_bf16 v88, v73, s[8:9] offset:256      // 000000009128: DD488100 00084958
	s_mov_b64 exec, s[36:37]                                   // 000000009130: BEFE0124
	s_mov_b64 exec, s[30:31]                                   // 000000009134: BEFE011E
	global_atomic_pk_add_bf16 v90, v74, s[8:9]                 // 000000009138: DD488000 00084A5A
	s_mov_b64 exec, s[36:37]                                   // 000000009140: BEFE0124
	s_mov_b64 exec, s[30:31]                                   // 000000009144: BEFE011E
	global_atomic_pk_add_bf16 v90, v75, s[8:9] offset:256      // 000000009148: DD488100 00084B5A
	s_mov_b64 exec, s[36:37]                                   // 000000009150: BEFE0124
	s_mov_b64 exec, s[32:33]                                   // 000000009154: BEFE0120
	global_atomic_pk_add_bf16 v92, v76, s[8:9]                 // 000000009158: DD488000 00084C5C
	s_mov_b64 exec, s[36:37]                                   // 000000009160: BEFE0124
	s_mov_b64 exec, s[32:33]                                   // 000000009164: BEFE0120
	global_atomic_pk_add_bf16 v92, v77, s[8:9] offset:256      // 000000009168: DD488100 00084D5C
	s_mov_b64 exec, s[36:37]                                   // 000000009170: BEFE0124
	s_mov_b64 exec, s[34:35]                                   // 000000009174: BEFE0122
	global_atomic_pk_add_bf16 v94, v78, s[8:9]                 // 000000009178: DD488000 00084E5E
	s_mov_b64 exec, s[36:37]                                   // 000000009180: BEFE0124
	s_mov_b64 exec, s[34:35]                                   // 000000009184: BEFE0122
	global_atomic_pk_add_bf16 v94, v79, s[8:9] offset:256      // 000000009188: DD488100 00084F5E
	s_mov_b64 exec, s[36:37]                                   // 000000009190: BEFE0124
	s_add_u32 s8, s59, s8                                      // 000000009194: 8008083B
	s_addc_u32 s9, 0, s9                                       // 000000009198: 82090980
	s_addk_i32 s80, 0x100                                      // 00000000919C: B7500100
	s_cmp_lt_i32 s80, s81                                      // 0000000091A0: BF045150
	s_cbranch_scc0 label_0D96                                  // 0000000091A4: BF84F4AC
	s_branch label_140C                                        // 0000000091A8: BF82FB21

00000000000091ac <label_18EB>:
	s_waitcnt vmcnt(0) expcnt(0) lgkmcnt(0)                    // 0000000091AC: BF8C0000
	s_endpgm                                                   // 0000000091B0: BF810000
